;; amdgpu-corpus repo=ROCm/rocFFT kind=compiled arch=gfx950 opt=O3
	.text
	.amdgcn_target "amdgcn-amd-amdhsa--gfx950"
	.amdhsa_code_object_version 6
	.protected	bluestein_single_fwd_len3888_dim1_half_op_CI_CI ; -- Begin function bluestein_single_fwd_len3888_dim1_half_op_CI_CI
	.globl	bluestein_single_fwd_len3888_dim1_half_op_CI_CI
	.p2align	8
	.type	bluestein_single_fwd_len3888_dim1_half_op_CI_CI,@function
bluestein_single_fwd_len3888_dim1_half_op_CI_CI: ; @bluestein_single_fwd_len3888_dim1_half_op_CI_CI
; %bb.0:
	s_load_dwordx4 s[8:11], s[0:1], 0x28
	v_mul_u32_u24_e32 v1, 0x195, v0
	v_lshrrev_b32_e32 v1, 17, v1
	v_mov_b32_e32 v3, 0
	v_add_u32_e32 v4, s2, v1
	v_mov_b32_e32 v5, v3
	s_waitcnt lgkmcnt(0)
	v_cmp_gt_u64_e32 vcc, s[8:9], v[4:5]
	s_and_saveexec_b64 s[2:3], vcc
	s_cbranch_execz .LBB0_15
; %bb.1:
	s_load_dwordx2 s[12:13], s[0:1], 0x0
	s_load_dwordx2 s[14:15], s[0:1], 0x38
	v_mul_lo_u16_e32 v1, 0x144, v1
	v_sub_u16_e32 v2, v0, v1
	s_movk_i32 s2, 0xf3
	v_cmp_gt_u16_e64 s[2:3], s2, v2
	v_lshlrev_b32_e32 v0, 2, v2
	s_and_saveexec_b64 s[8:9], s[2:3]
	s_cbranch_execz .LBB0_3
; %bb.2:
	s_load_dwordx2 s[4:5], s[0:1], 0x18
	v_mov_b32_e32 v6, s10
	v_mov_b32_e32 v7, s11
	;; [unrolled: 1-line block ×3, first 2 shown]
	s_movk_i32 s16, 0x3000
	s_waitcnt lgkmcnt(0)
	s_load_dwordx4 s[4:7], s[4:5], 0x0
	s_waitcnt lgkmcnt(0)
	v_mad_u64_u32 v[8:9], s[10:11], s6, v4, 0
	v_mad_u64_u32 v[10:11], s[10:11], s4, v2, 0
	v_mov_b32_e32 v12, v9
	v_mov_b32_e32 v14, v11
	v_mad_u64_u32 v[12:13], s[6:7], s7, v4, v[12:13]
	v_mov_b32_e32 v9, v12
	v_mad_u64_u32 v[12:13], s[6:7], s5, v2, v[14:15]
	v_mov_b32_e32 v11, v12
	v_lshl_add_u64 v[6:7], v[8:9], 2, v[6:7]
	v_lshl_add_u64 v[6:7], v[10:11], 2, v[6:7]
	global_load_dword v5, v[6:7], off
	v_mov_b32_e32 v14, 0x3cc
	global_load_dword v15, v0, s[12:13]
	v_mad_u64_u32 v[6:7], s[6:7], s4, v14, v[6:7]
	s_mulk_i32 s5, 0x3cc
	v_add_u32_e32 v7, s5, v7
	global_load_dword v16, v[6:7], off
	global_load_dword v17, v0, s[12:13] offset:972
	v_mad_u64_u32 v[6:7], s[6:7], s4, v14, v[6:7]
	v_add_u32_e32 v7, s5, v7
	global_load_dword v18, v[6:7], off
	global_load_dword v19, v0, s[12:13] offset:1944
	s_movk_i32 s10, 0x1000
	v_lshl_add_u64 v[8:9], s[12:13], 0, v[0:1]
	v_mad_u64_u32 v[6:7], s[6:7], s4, v14, v[6:7]
	v_add_u32_e32 v7, s5, v7
	v_add_co_u32_e32 v10, vcc, s10, v8
	global_load_dword v20, v0, s[12:13] offset:2916
	global_load_dword v21, v0, s[12:13] offset:3888
	s_movk_i32 s11, 0x2000
	global_load_dword v1, v[6:7], off
	v_addc_co_u32_e32 v11, vcc, 0, v9, vcc
	v_add_co_u32_e32 v12, vcc, s11, v8
	v_mad_u64_u32 v[6:7], s[6:7], s4, v14, v[6:7]
	s_nop 0
	v_addc_co_u32_e32 v13, vcc, 0, v9, vcc
	v_add_co_u32_e32 v8, vcc, s16, v8
	v_add_u32_e32 v7, s5, v7
	s_nop 0
	v_addc_co_u32_e32 v9, vcc, 0, v9, vcc
	global_load_dword v22, v[8:9], off offset:348
	global_load_dword v23, v[8:9], off offset:1320
	;; [unrolled: 1-line block ×4, first 2 shown]
	s_waitcnt vmcnt(12)
	v_lshrrev_b32_e32 v32, 16, v5
	global_load_dword v8, v[6:7], off
	v_mad_u64_u32 v[6:7], s[6:7], s4, v14, v[6:7]
	v_add_u32_e32 v7, s5, v7
	global_load_dword v9, v[6:7], off
	v_mad_u64_u32 v[6:7], s[6:7], s4, v14, v[6:7]
	v_add_u32_e32 v7, s5, v7
	;; [unrolled: 3-line block ×3, first 2 shown]
	global_load_dword v27, v[6:7], off
	global_load_dword v28, v[10:11], off offset:1736
	global_load_dword v30, v[10:11], off offset:2708
	v_mad_u64_u32 v[6:7], s[6:7], s4, v14, v[6:7]
	v_add_u32_e32 v7, s5, v7
	global_load_dword v29, v[6:7], off
	v_mad_u64_u32 v[6:7], s[6:7], s4, v14, v[6:7]
	global_load_dword v10, v[10:11], off offset:3680
	v_add_u32_e32 v7, s5, v7
	s_waitcnt vmcnt(19)
	v_mul_f16_sdwa v33, v15, v5 dst_sel:DWORD dst_unused:UNUSED_PAD src0_sel:WORD_1 src1_sel:DWORD
	v_mul_f16_sdwa v11, v15, v32 dst_sel:DWORD dst_unused:UNUSED_PAD src0_sel:WORD_1 src1_sel:DWORD
	global_load_dword v31, v[6:7], off
	v_fma_f16 v32, v15, v32, -v33
	v_fma_f16 v5, v15, v5, v11
	s_waitcnt vmcnt(19)
	v_lshrrev_b32_e32 v11, 16, v16
	s_waitcnt vmcnt(18)
	v_mul_f16_sdwa v15, v17, v16 dst_sel:DWORD dst_unused:UNUSED_PAD src0_sel:WORD_1 src1_sel:DWORD
	global_load_dword v33, v[12:13], off offset:556
	v_pack_b32_f16 v5, v5, v32
	v_mul_f16_sdwa v32, v17, v11 dst_sel:DWORD dst_unused:UNUSED_PAD src0_sel:WORD_1 src1_sel:DWORD
	v_fma_f16 v11, v17, v11, -v15
	v_fma_f16 v15, v17, v16, v32
	v_mad_u64_u32 v[6:7], s[6:7], s4, v14, v[6:7]
	v_pack_b32_f16 v11, v15, v11
	v_add_u32_e32 v7, s5, v7
	ds_write2_b32 v0, v5, v11 offset1:243
	global_load_dword v5, v[6:7], off
	global_load_dword v11, v[12:13], off offset:1528
	v_mad_u64_u32 v[6:7], s[6:7], s4, v14, v[6:7]
	v_add_u32_e32 v7, s5, v7
	global_load_dword v16, v[6:7], off
	global_load_dword v17, v[12:13], off offset:2500
	v_mad_u64_u32 v[6:7], s[6:7], s4, v14, v[6:7]
	v_add_u32_e32 v7, s5, v7
	;; [unrolled: 4-line block ×3, first 2 shown]
	global_load_dword v13, v[6:7], off
	s_waitcnt vmcnt(25)
	v_lshrrev_b32_e32 v15, 16, v18
	s_waitcnt vmcnt(24)
	v_mul_f16_sdwa v32, v19, v15 dst_sel:DWORD dst_unused:UNUSED_PAD src0_sel:WORD_1 src1_sel:DWORD
	v_mad_u64_u32 v[6:7], s[6:7], s4, v14, v[6:7]
	v_fma_f16 v32, v19, v18, v32
	v_mul_f16_sdwa v18, v19, v18 dst_sel:DWORD dst_unused:UNUSED_PAD src0_sel:WORD_1 src1_sel:DWORD
	v_add_u32_e32 v7, s5, v7
	v_fma_f16 v12, v19, v15, -v18
	global_load_dword v19, v[6:7], off
	v_mad_u64_u32 v[6:7], s[6:7], s4, v14, v[6:7]
	v_add_u32_e32 v7, s5, v7
	global_load_dword v6, v[6:7], off
	s_waitcnt vmcnt(23)
	v_lshrrev_b32_e32 v15, 16, v1
	v_mul_f16_sdwa v18, v20, v15 dst_sel:DWORD dst_unused:UNUSED_PAD src0_sel:WORD_1 src1_sel:DWORD
	v_fma_f16 v18, v20, v1, v18
	v_mul_f16_sdwa v1, v20, v1 dst_sel:DWORD dst_unused:UNUSED_PAD src0_sel:WORD_1 src1_sel:DWORD
	v_fma_f16 v1, v20, v15, -v1
	v_pack_b32_f16 v12, v32, v12
	v_pack_b32_f16 v1, v18, v1
	v_add_u32_e32 v7, 0x780, v0
	ds_write2_b32 v7, v12, v1 offset0:6 offset1:249
	s_waitcnt vmcnt(18)
	v_lshrrev_b32_e32 v1, 16, v8
	v_mul_f16_sdwa v7, v21, v1 dst_sel:DWORD dst_unused:UNUSED_PAD src0_sel:WORD_1 src1_sel:DWORD
	v_fma_f16 v7, v21, v8, v7
	v_mul_f16_sdwa v8, v21, v8 dst_sel:DWORD dst_unused:UNUSED_PAD src0_sel:WORD_1 src1_sel:DWORD
	v_fma_f16 v1, v21, v1, -v8
	v_pack_b32_f16 v1, v7, v1
	s_waitcnt vmcnt(17)
	v_lshrrev_b32_e32 v7, 16, v9
	v_mul_f16_sdwa v8, v25, v7 dst_sel:DWORD dst_unused:UNUSED_PAD src0_sel:WORD_1 src1_sel:DWORD
	v_fma_f16 v8, v25, v9, v8
	v_mul_f16_sdwa v9, v25, v9 dst_sel:DWORD dst_unused:UNUSED_PAD src0_sel:WORD_1 src1_sel:DWORD
	v_fma_f16 v7, v25, v7, -v9
	v_pack_b32_f16 v7, v8, v7
	v_add_u32_e32 v8, 0xf00, v0
	ds_write2_b32 v8, v1, v7 offset0:12 offset1:255
	s_waitcnt vmcnt(16)
	v_lshrrev_b32_e32 v1, 16, v26
	s_waitcnt vmcnt(14)
	v_mul_f16_sdwa v7, v28, v1 dst_sel:DWORD dst_unused:UNUSED_PAD src0_sel:WORD_1 src1_sel:DWORD
	v_mul_f16_sdwa v8, v28, v26 dst_sel:DWORD dst_unused:UNUSED_PAD src0_sel:WORD_1 src1_sel:DWORD
	v_fma_f16 v7, v28, v26, v7
	v_fma_f16 v1, v28, v1, -v8
	v_pack_b32_f16 v1, v7, v1
	v_lshrrev_b32_e32 v7, 16, v27
	s_waitcnt vmcnt(13)
	v_mul_f16_sdwa v8, v30, v7 dst_sel:DWORD dst_unused:UNUSED_PAD src0_sel:WORD_1 src1_sel:DWORD
	v_mul_f16_sdwa v9, v30, v27 dst_sel:DWORD dst_unused:UNUSED_PAD src0_sel:WORD_1 src1_sel:DWORD
	v_fma_f16 v8, v30, v27, v8
	v_fma_f16 v7, v30, v7, -v9
	v_pack_b32_f16 v7, v8, v7
	v_add_u32_e32 v8, 0x16c0, v0
	ds_write2_b32 v8, v1, v7 offset0:2 offset1:245
	s_waitcnt vmcnt(12)
	v_lshrrev_b32_e32 v1, 16, v29
	s_waitcnt vmcnt(11)
	v_mul_f16_sdwa v7, v10, v1 dst_sel:DWORD dst_unused:UNUSED_PAD src0_sel:WORD_1 src1_sel:DWORD
	v_mul_f16_sdwa v8, v10, v29 dst_sel:DWORD dst_unused:UNUSED_PAD src0_sel:WORD_1 src1_sel:DWORD
	v_fma_f16 v7, v10, v29, v7
	v_fma_f16 v1, v10, v1, -v8
	v_pack_b32_f16 v1, v7, v1
	s_waitcnt vmcnt(10)
	v_lshrrev_b32_e32 v7, 16, v31
	s_waitcnt vmcnt(9)
	v_mul_f16_sdwa v8, v33, v7 dst_sel:DWORD dst_unused:UNUSED_PAD src0_sel:WORD_1 src1_sel:DWORD
	v_mul_f16_sdwa v9, v33, v31 dst_sel:DWORD dst_unused:UNUSED_PAD src0_sel:WORD_1 src1_sel:DWORD
	v_fma_f16 v8, v33, v31, v8
	v_fma_f16 v7, v33, v7, -v9
	v_pack_b32_f16 v7, v8, v7
	v_add_u32_e32 v8, 0x1e40, v0
	ds_write2_b32 v8, v1, v7 offset0:8 offset1:251
	s_waitcnt vmcnt(8)
	v_lshrrev_b32_e32 v1, 16, v5
	s_waitcnt vmcnt(7)
	v_mul_f16_sdwa v7, v11, v1 dst_sel:DWORD dst_unused:UNUSED_PAD src0_sel:WORD_1 src1_sel:DWORD
	v_fma_f16 v7, v11, v5, v7
	v_mul_f16_sdwa v5, v11, v5 dst_sel:DWORD dst_unused:UNUSED_PAD src0_sel:WORD_1 src1_sel:DWORD
	v_fma_f16 v1, v11, v1, -v5
	s_waitcnt vmcnt(6)
	v_lshrrev_b32_e32 v5, 16, v16
	v_pack_b32_f16 v1, v7, v1
	s_waitcnt vmcnt(5)
	v_mul_f16_sdwa v7, v17, v5 dst_sel:DWORD dst_unused:UNUSED_PAD src0_sel:WORD_1 src1_sel:DWORD
	v_mul_f16_sdwa v8, v17, v16 dst_sel:DWORD dst_unused:UNUSED_PAD src0_sel:WORD_1 src1_sel:DWORD
	v_fma_f16 v7, v17, v16, v7
	v_fma_f16 v5, v17, v5, -v8
	v_pack_b32_f16 v5, v7, v5
	v_add_u32_e32 v7, 0x25e0, v0
	ds_write2_b32 v7, v1, v5 offset0:6 offset1:249
	s_waitcnt vmcnt(4)
	v_lshrrev_b32_e32 v1, 16, v34
	s_waitcnt vmcnt(3)
	v_mul_f16_sdwa v5, v35, v1 dst_sel:DWORD dst_unused:UNUSED_PAD src0_sel:WORD_1 src1_sel:DWORD
	v_mul_f16_sdwa v7, v35, v34 dst_sel:DWORD dst_unused:UNUSED_PAD src0_sel:WORD_1 src1_sel:DWORD
	v_fma_f16 v5, v35, v34, v5
	v_fma_f16 v1, v35, v1, -v7
	v_pack_b32_f16 v1, v5, v1
	s_waitcnt vmcnt(2)
	v_lshrrev_b32_e32 v5, 16, v13
	v_mul_f16_sdwa v7, v22, v5 dst_sel:DWORD dst_unused:UNUSED_PAD src0_sel:WORD_1 src1_sel:DWORD
	v_mul_f16_sdwa v8, v22, v13 dst_sel:DWORD dst_unused:UNUSED_PAD src0_sel:WORD_1 src1_sel:DWORD
	v_fma_f16 v7, v22, v13, v7
	v_fma_f16 v5, v22, v5, -v8
	v_pack_b32_f16 v5, v7, v5
	v_add_u32_e32 v7, 0x2d80, v0
	ds_write2_b32 v7, v1, v5 offset0:4 offset1:247
	s_waitcnt vmcnt(1)
	v_lshrrev_b32_e32 v1, 16, v19
	v_mul_f16_sdwa v5, v23, v1 dst_sel:DWORD dst_unused:UNUSED_PAD src0_sel:WORD_1 src1_sel:DWORD
	v_mul_f16_sdwa v7, v23, v19 dst_sel:DWORD dst_unused:UNUSED_PAD src0_sel:WORD_1 src1_sel:DWORD
	v_fma_f16 v5, v23, v19, v5
	v_fma_f16 v1, v23, v1, -v7
	v_pack_b32_f16 v1, v5, v1
	s_waitcnt vmcnt(0)
	v_lshrrev_b32_e32 v5, 16, v6
	v_mul_f16_sdwa v7, v24, v5 dst_sel:DWORD dst_unused:UNUSED_PAD src0_sel:WORD_1 src1_sel:DWORD
	v_fma_f16 v7, v24, v6, v7
	v_mul_f16_sdwa v6, v24, v6 dst_sel:DWORD dst_unused:UNUSED_PAD src0_sel:WORD_1 src1_sel:DWORD
	v_fma_f16 v5, v24, v5, -v6
	v_pack_b32_f16 v5, v7, v5
	v_add_u32_e32 v6, 0x3500, v0
	ds_write2_b32 v6, v1, v5 offset0:10 offset1:253
.LBB0_3:
	s_or_b64 exec, exec, s[8:9]
	s_load_dwordx2 s[6:7], s[0:1], 0x20
	s_load_dwordx2 s[4:5], s[0:1], 0x8
	s_waitcnt lgkmcnt(0)
	s_barrier
	s_waitcnt lgkmcnt(0)
                                        ; implicit-def: $vgpr6
                                        ; implicit-def: $vgpr14
                                        ; implicit-def: $vgpr10
                                        ; implicit-def: $vgpr18
                                        ; implicit-def: $vgpr8
                                        ; implicit-def: $vgpr16
                                        ; implicit-def: $vgpr12
                                        ; implicit-def: $vgpr20
	s_and_saveexec_b64 s[0:1], s[2:3]
	s_cbranch_execz .LBB0_5
; %bb.4:
	v_add_u32_e32 v1, 0x780, v0
	ds_read2_b32 v[8:9], v1 offset0:6 offset1:249
	v_add_u32_e32 v1, 0xf00, v0
	ds_read2_b32 v[10:11], v1 offset0:12 offset1:255
	;; [unrolled: 2-line block ×6, first 2 shown]
	v_add_u32_e32 v1, 0x3500, v0
	ds_read2_b32 v[6:7], v0 offset1:243
	ds_read2_b32 v[20:21], v1 offset0:10 offset1:253
.LBB0_5:
	s_or_b64 exec, exec, s[0:1]
	s_waitcnt lgkmcnt(3)
	v_pk_add_f16 v24, v8, v16 neg_lo:[0,1] neg_hi:[0,1]
	s_waitcnt lgkmcnt(1)
	v_pk_add_f16 v22, v6, v14 neg_lo:[0,1] neg_hi:[0,1]
	;; [unrolled: 2-line block ×3, first 2 shown]
	v_lshrrev_b32_e32 v14, 16, v24
	v_pk_add_f16 v23, v10, v18 neg_lo:[0,1] neg_hi:[0,1]
	v_pk_add_f16 v28, v7, v15 neg_lo:[0,1] neg_hi:[0,1]
	;; [unrolled: 1-line block ×3, first 2 shown]
	v_add_f16_e32 v27, v25, v14
	v_pk_add_f16 v29, v11, v19 neg_lo:[0,1] neg_hi:[0,1]
	v_pk_add_f16 v31, v13, v21 neg_lo:[0,1] neg_hi:[0,1]
	v_sub_f16_sdwa v18, v22, v23 dst_sel:DWORD dst_unused:UNUSED_PAD src0_sel:DWORD src1_sel:WORD_1
	v_lshrrev_b32_e32 v1, 16, v22
	v_fma_f16 v19, v14, 2.0, -v27
	v_lshrrev_b32_e32 v14, 16, v28
	v_lshrrev_b32_e32 v32, 16, v30
	v_pk_fma_f16 v6, v6, 2.0, v22 op_sel_hi:[1,0,1] neg_lo:[0,0,1] neg_hi:[0,0,1]
	v_pk_fma_f16 v10, v10, 2.0, v23 op_sel_hi:[1,0,1] neg_lo:[0,0,1] neg_hi:[0,0,1]
	v_add_f16_e32 v16, v23, v1
	v_fma_f16 v5, v22, 2.0, -v18
	v_sub_f16_sdwa v26, v24, v25 dst_sel:DWORD dst_unused:UNUSED_PAD src0_sel:DWORD src1_sel:WORD_1
	v_sub_f16_sdwa v20, v28, v29 dst_sel:DWORD dst_unused:UNUSED_PAD src0_sel:DWORD src1_sel:WORD_1
	v_add_f16_e32 v21, v29, v14
	v_sub_f16_sdwa v34, v30, v31 dst_sel:DWORD dst_unused:UNUSED_PAD src0_sel:DWORD src1_sel:WORD_1
	v_add_f16_e32 v35, v31, v32
	v_pk_fma_f16 v8, v8, 2.0, v24 op_sel_hi:[1,0,1] neg_lo:[0,0,1] neg_hi:[0,0,1]
	v_pk_fma_f16 v12, v12, 2.0, v25 op_sel_hi:[1,0,1] neg_lo:[0,0,1] neg_hi:[0,0,1]
	;; [unrolled: 1-line block ×4, first 2 shown]
	v_pk_add_f16 v10, v6, v10 neg_lo:[0,1] neg_hi:[0,1]
	v_fma_f16 v1, v1, 2.0, -v16
	v_fma_f16 v17, v24, 2.0, -v26
	v_fma_f16 v15, v28, 2.0, -v20
	v_fma_f16 v14, v14, 2.0, -v21
	v_fma_f16 v33, v30, 2.0, -v34
	v_fma_f16 v32, v32, 2.0, -v35
	s_mov_b32 s8, 0xb9a8
	v_pk_fma_f16 v9, v9, 2.0, v30 op_sel_hi:[1,0,1] neg_lo:[0,0,1] neg_hi:[0,0,1]
	v_pk_fma_f16 v13, v13, 2.0, v31 op_sel_hi:[1,0,1] neg_lo:[0,0,1] neg_hi:[0,0,1]
	v_pk_add_f16 v12, v8, v12 neg_lo:[0,1] neg_hi:[0,1]
	v_pk_add_f16 v11, v22, v11 neg_lo:[0,1] neg_hi:[0,1]
	v_lshrrev_b32_e32 v28, 16, v10
	v_fma_f16 v36, v17, s8, v5
	v_fma_f16 v37, v19, s8, v1
	s_movk_i32 s9, 0x39a8
	v_pk_fma_f16 v7, v6, 2.0, v10 op_sel_hi:[1,0,1] neg_lo:[0,0,1] neg_hi:[0,0,1]
	v_pk_fma_f16 v6, v8, 2.0, v12 op_sel_hi:[1,0,1] neg_lo:[0,0,1] neg_hi:[0,0,1]
	;; [unrolled: 1-line block ×3, first 2 shown]
	v_pk_add_f16 v22, v9, v13 neg_lo:[0,1] neg_hi:[0,1]
	v_sub_f16_sdwa v30, v10, v12 dst_sel:DWORD dst_unused:UNUSED_PAD src0_sel:DWORD src1_sel:WORD_1
	v_add_f16_e32 v29, v12, v28
	v_fma_f16 v12, v33, s8, v15
	v_fma_f16 v23, v32, s8, v14
	v_lshrrev_b32_e32 v31, 16, v11
	v_fma_f16 v19, v19, s8, v36
	v_fma_f16 v17, v17, s9, v37
	;; [unrolled: 1-line block ×4, first 2 shown]
	v_pk_fma_f16 v9, v9, 2.0, v22 op_sel_hi:[1,0,1] neg_lo:[0,0,1] neg_hi:[0,0,1]
	v_fma_f16 v13, v32, s8, v12
	v_fma_f16 v12, v33, s9, v23
	v_sub_f16_sdwa v32, v11, v22 dst_sel:DWORD dst_unused:UNUSED_PAD src0_sel:DWORD src1_sel:WORD_1
	v_add_f16_e32 v33, v22, v31
	v_fma_f16 v22, v34, s9, v20
	v_fma_f16 v23, v35, s9, v21
	s_movk_i32 s10, 0x361f
	v_fma_f16 v27, v27, s8, v36
	v_fma_f16 v26, v26, s9, v37
	;; [unrolled: 1-line block ×5, first 2 shown]
	s_movk_i32 s17, 0x3b64
	v_fma_f16 v25, v33, s9, v29
	v_pk_add_f16 v6, v7, v6 neg_lo:[0,1] neg_hi:[0,1]
	v_pk_add_f16 v9, v8, v9 neg_lo:[0,1] neg_hi:[0,1]
	v_fma_f16 v23, v13, s10, v19
	s_mov_b32 s11, 0xbb64
	v_fma_f16 v69, v13, s17, v24
	v_fma_f16 v24, v32, s9, v30
	;; [unrolled: 1-line block ×5, first 2 shown]
	s_mov_b32 s16, 0xb61f
	v_pk_add_f16 v22, v6, v9 op_sel:[0,1] op_sel_hi:[1,0] neg_lo:[0,1] neg_hi:[0,1]
	v_pk_add_f16 v78, v6, v9 op_sel:[0,1] op_sel_hi:[1,0]
	v_fma_f16 v23, v12, s11, v23
	v_fma_f16 v24, v33, s8, v24
	;; [unrolled: 1-line block ×4, first 2 shown]
	v_lshlrev_b16_e32 v64, 4, v2
	s_barrier
	s_and_saveexec_b64 s[0:1], s[2:3]
	s_cbranch_execz .LBB0_7
; %bb.6:
	v_fma_f16 v18, v18, 2.0, -v27
	v_fma_f16 v20, v20, 2.0, -v35
	;; [unrolled: 1-line block ×3, first 2 shown]
	v_fma_f16 v27, v20, s16, v18
	v_fma_f16 v21, v21, 2.0, -v34
	v_fma_f16 v16, v16, 2.0, -v26
	v_fma_f16 v27, v21, s11, v27
	v_fma_f16 v21, v21, s16, v16
	v_fma_f16 v10, v10, 2.0, -v30
	v_fma_f16 v11, v11, 2.0, -v32
	;; [unrolled: 1-line block ×3, first 2 shown]
	v_fma_f16 v20, v20, s17, v21
	v_fma_f16 v21, v11, s8, v10
	v_fma_f16 v26, v31, 2.0, -v33
	v_fma_f16 v21, v26, s8, v21
	v_fma_f16 v39, v30, 2.0, -v24
	v_fma_f16 v30, v10, 2.0, -v21
	;; [unrolled: 1-line block ×3, first 2 shown]
	v_fma_f16 v26, v26, s8, v10
	v_fma_f16 v26, v11, s9, v26
	v_fma_f16 v28, v10, 2.0, -v26
	v_fma_f16 v5, v5, 2.0, -v19
	v_fma_f16 v10, v15, 2.0, -v13
	v_fma_f16 v11, v10, s11, v5
	v_fma_f16 v12, v14, 2.0, -v12
	v_fma_f16 v1, v1, 2.0, -v17
	v_fma_f16 v14, v12, s16, v11
	v_fma_f16 v11, v12, s11, v1
	;; [unrolled: 1-line block ×3, first 2 shown]
	v_pk_fma_f16 v7, v7, 2.0, v6 op_sel_hi:[1,0,1] neg_lo:[0,0,1] neg_hi:[0,0,1]
	v_pk_fma_f16 v8, v8, 2.0, v9 op_sel_hi:[1,0,1] neg_lo:[0,0,1] neg_hi:[0,0,1]
	s_mov_b32 s18, 0xffff
	v_fma_f16 v18, v18, 2.0, -v27
	v_fma_f16 v16, v16, 2.0, -v20
	v_fma_f16 v5, v5, 2.0, -v14
	v_fma_f16 v1, v1, 2.0, -v15
	v_pk_add_f16 v8, v7, v8 neg_lo:[0,1] neg_hi:[0,1]
	v_bfi_b32 v36, s18, v22, v78
	v_fma_f16 v40, v29, 2.0, -v74
	v_fma_f16 v41, v19, 2.0, -v23
	;; [unrolled: 1-line block ×3, first 2 shown]
	v_lshlrev_b32_e32 v17, 2, v64
	v_pk_fma_f16 v10, v7, 2.0, v8 op_sel_hi:[1,0,1] neg_lo:[0,0,1] neg_hi:[0,0,1]
	v_pack_b32_f16 v13, v18, v16
	v_pack_b32_f16 v11, v5, v1
	;; [unrolled: 1-line block ×3, first 2 shown]
	ds_write_b128 v17, v[10:13]
	v_pk_fma_f16 v10, v6, 2.0, v36 op_sel_hi:[1,0,1] neg_lo:[0,0,1] neg_hi:[0,0,1]
	v_pack_b32_f16 v13, v37, v38
	v_pack_b32_f16 v12, v39, v40
	v_pack_b32_f16 v11, v41, v42
	s_mov_b32 s8, 0x5040100
	ds_write_b128 v17, v[10:13] offset:16
	v_pack_b32_f16 v11, v27, v20
	v_pack_b32_f16 v9, v14, v15
	;; [unrolled: 1-line block ×3, first 2 shown]
	v_perm_b32 v39, v70, v25, s8
	v_perm_b32 v38, v74, v24, s8
	;; [unrolled: 1-line block ×3, first 2 shown]
	ds_write_b128 v17, v[8:11] offset:32
	ds_write_b128 v17, v[36:39] offset:48
.LBB0_7:
	s_or_b64 exec, exec, s[0:1]
	s_mov_b64 s[0:1], 0x144
	v_and_b32_e32 v1, 15, v2
	v_lshlrev_b32_e32 v5, 3, v1
	v_lshl_add_u64 v[44:45], v[2:3], 0, s[0:1]
	s_load_dwordx4 s[8:11], s[6:7], 0x0
	s_waitcnt lgkmcnt(0)
	s_barrier
	global_load_dwordx2 v[6:7], v5, s[4:5]
	v_and_b32_e32 v14, 15, v44
	v_lshlrev_b32_e32 v5, 3, v14
	s_mov_b64 s[0:1], 0x288
	global_load_dwordx2 v[8:9], v5, s[4:5]
	v_lshl_add_u64 v[42:43], v[2:3], 0, s[0:1]
	v_and_b32_e32 v15, 15, v42
	s_mov_b64 s[0:1], 0x3cc
	v_lshlrev_b32_e32 v5, 3, v15
	global_load_dwordx2 v[10:11], v5, s[4:5]
	v_lshl_add_u64 v[46:47], v[2:3], 0, s[0:1]
	v_and_b32_e32 v16, 15, v46
	v_lshlrev_b32_e32 v5, 3, v16
	global_load_dwordx2 v[12:13], v5, s[4:5]
	v_mov_b32_e32 v5, 2
	v_lshlrev_b32_sdwa v5, v5, v2 dst_sel:DWORD dst_unused:UNUSED_PAD src0_sel:DWORD src1_sel:WORD_0
	ds_read_b32 v17, v5
	ds_read_b32 v18, v5 offset:1296
	ds_read_b32 v19, v5 offset:2592
	ds_read_b32 v20, v5 offset:7776
	ds_read_b32 v21, v5 offset:9072
	ds_read_b32 v26, v5 offset:6480
	ds_read_b32 v27, v5 offset:5184
	ds_read_b32 v28, v5 offset:3888
	ds_read_b32 v29, v5 offset:10368
	ds_read_b32 v30, v5 offset:11664
	ds_read_b32 v31, v5 offset:12960
	ds_read_b32 v32, v5 offset:14256
	s_waitcnt lgkmcnt(5)
	v_lshrrev_b32_e32 v34, 16, v27
	s_waitcnt lgkmcnt(3)
	v_lshrrev_b32_e32 v35, 16, v29
	v_lshrrev_b32_e32 v37, 16, v26
	s_waitcnt lgkmcnt(2)
	v_lshrrev_b32_e32 v38, 16, v30
	v_lshrrev_b32_e32 v33, 16, v17
	s_movk_i32 s0, 0x3aee
	s_mov_b32 s1, 0xbaee
	v_lshrrev_b32_e32 v40, 16, v20
	s_waitcnt lgkmcnt(1)
	v_lshrrev_b32_e32 v41, 16, v31
	v_lshrrev_b32_e32 v36, 16, v18
	;; [unrolled: 1-line block ×3, first 2 shown]
	s_waitcnt lgkmcnt(0)
	v_lshrrev_b32_e32 v48, 16, v32
	v_lshrrev_b32_e32 v39, 16, v19
	;; [unrolled: 1-line block ×3, first 2 shown]
	s_barrier
	s_mov_b32 s6, 0xaaab
	s_waitcnt vmcnt(3)
	v_mul_f16_sdwa v49, v34, v6 dst_sel:DWORD dst_unused:UNUSED_PAD src0_sel:DWORD src1_sel:WORD_1
	v_mul_f16_sdwa v51, v35, v7 dst_sel:DWORD dst_unused:UNUSED_PAD src0_sel:DWORD src1_sel:WORD_1
	v_mul_f16_sdwa v50, v27, v6 dst_sel:DWORD dst_unused:UNUSED_PAD src0_sel:DWORD src1_sel:WORD_1
	v_mul_f16_sdwa v52, v29, v7 dst_sel:DWORD dst_unused:UNUSED_PAD src0_sel:DWORD src1_sel:WORD_1
	v_fma_f16 v27, v27, v6, -v49
	v_fma_f16 v29, v29, v7, -v51
	v_fma_f16 v34, v34, v6, v50
	v_fma_f16 v35, v35, v7, v52
	s_waitcnt vmcnt(2)
	v_mul_f16_sdwa v50, v26, v8 dst_sel:DWORD dst_unused:UNUSED_PAD src0_sel:DWORD src1_sel:WORD_1
	v_add_f16_e32 v62, v27, v29
	v_mul_f16_sdwa v49, v37, v8 dst_sel:DWORD dst_unused:UNUSED_PAD src0_sel:DWORD src1_sel:WORD_1
	v_mul_f16_sdwa v51, v38, v9 dst_sel:DWORD dst_unused:UNUSED_PAD src0_sel:DWORD src1_sel:WORD_1
	v_add_f16_e32 v61, v17, v27
	v_fma_f16 v37, v37, v8, v50
	v_fma_f16 v17, v62, -0.5, v17
	v_sub_f16_e32 v50, v34, v35
	v_mul_f16_sdwa v52, v30, v9 dst_sel:DWORD dst_unused:UNUSED_PAD src0_sel:DWORD src1_sel:WORD_1
	v_fma_f16 v26, v26, v8, -v49
	v_fma_f16 v30, v30, v9, -v51
	v_fma_f16 v51, v50, s0, v17
	v_fma_f16 v17, v50, s1, v17
	v_add_f16_e32 v50, v33, v34
	v_add_f16_e32 v34, v34, v35
	v_fma_f16 v38, v38, v9, v52
	v_fma_f16 v33, v34, -0.5, v33
	v_sub_f16_e32 v27, v27, v29
	v_add_f16_e32 v34, v26, v30
	s_waitcnt vmcnt(1)
	v_mul_f16_sdwa v53, v40, v10 dst_sel:DWORD dst_unused:UNUSED_PAD src0_sel:DWORD src1_sel:WORD_1
	v_mul_f16_sdwa v55, v41, v11 dst_sel:DWORD dst_unused:UNUSED_PAD src0_sel:DWORD src1_sel:WORD_1
	v_add_f16_e32 v49, v61, v29
	v_fma_f16 v29, v27, s1, v33
	v_fma_f16 v27, v27, s0, v33
	v_add_f16_e32 v33, v18, v26
	v_fma_f16 v18, v34, -0.5, v18
	v_sub_f16_e32 v34, v37, v38
	v_mul_f16_sdwa v54, v20, v10 dst_sel:DWORD dst_unused:UNUSED_PAD src0_sel:DWORD src1_sel:WORD_1
	v_mul_f16_sdwa v56, v31, v11 dst_sel:DWORD dst_unused:UNUSED_PAD src0_sel:DWORD src1_sel:WORD_1
	v_fma_f16 v20, v20, v10, -v53
	v_fma_f16 v31, v31, v11, -v55
	v_add_f16_e32 v50, v50, v35
	v_fma_f16 v35, v34, s0, v18
	v_fma_f16 v18, v34, s1, v18
	v_add_f16_e32 v34, v36, v37
	v_add_f16_e32 v37, v37, v38
	v_fma_f16 v40, v40, v10, v54
	v_fma_f16 v41, v41, v11, v56
	v_fma_f16 v36, v37, -0.5, v36
	v_sub_f16_e32 v26, v26, v30
	v_add_f16_e32 v37, v20, v31
	s_waitcnt vmcnt(0)
	v_mul_f16_sdwa v57, v47, v12 dst_sel:DWORD dst_unused:UNUSED_PAD src0_sel:DWORD src1_sel:WORD_1
	v_mul_f16_sdwa v59, v48, v13 dst_sel:DWORD dst_unused:UNUSED_PAD src0_sel:DWORD src1_sel:WORD_1
	v_add_f16_e32 v33, v33, v30
	v_fma_f16 v30, v26, s1, v36
	v_fma_f16 v26, v26, s0, v36
	v_add_f16_e32 v36, v19, v20
	v_fma_f16 v19, v37, -0.5, v19
	v_sub_f16_e32 v37, v40, v41
	v_mul_f16_sdwa v58, v21, v12 dst_sel:DWORD dst_unused:UNUSED_PAD src0_sel:DWORD src1_sel:WORD_1
	v_mul_f16_sdwa v60, v32, v13 dst_sel:DWORD dst_unused:UNUSED_PAD src0_sel:DWORD src1_sel:WORD_1
	v_fma_f16 v21, v21, v12, -v57
	v_fma_f16 v32, v32, v13, -v59
	v_add_f16_e32 v34, v34, v38
	v_fma_f16 v38, v37, s0, v19
	v_fma_f16 v19, v37, s1, v19
	v_add_f16_e32 v37, v39, v40
	v_add_f16_e32 v40, v40, v41
	v_fma_f16 v47, v47, v12, v58
	v_fma_f16 v48, v48, v13, v60
	v_fma_f16 v39, v40, -0.5, v39
	v_sub_f16_e32 v20, v20, v31
	v_add_f16_e32 v40, v21, v32
	v_add_f16_e32 v36, v36, v31
	v_fma_f16 v31, v20, s1, v39
	v_fma_f16 v20, v20, s0, v39
	v_add_f16_e32 v39, v28, v21
	v_fma_f16 v28, v40, -0.5, v28
	v_sub_f16_e32 v40, v47, v48
	v_add_f16_e32 v37, v37, v41
	v_fma_f16 v41, v40, s0, v28
	v_fma_f16 v28, v40, s1, v28
	v_add_f16_e32 v40, v43, v47
	v_add_f16_e32 v47, v47, v48
	v_fma_f16 v43, v47, -0.5, v43
	v_sub_f16_e32 v21, v21, v32
	v_add_f16_e32 v39, v39, v32
	v_fma_f16 v32, v21, s1, v43
	v_fma_f16 v21, v21, s0, v43
	v_lshrrev_b32_e32 v43, 4, v2
	v_mul_u32_u24_e32 v43, 48, v43
	v_or_b32_e32 v1, v43, v1
	v_lshlrev_b32_e32 v65, 2, v1
	v_pack_b32_f16 v1, v49, v50
	v_pack_b32_f16 v29, v51, v29
	ds_write2_b32 v65, v1, v29 offset1:16
	v_pack_b32_f16 v1, v17, v27
	ds_write_b32 v65, v1 offset:128
	v_lshrrev_b32_e32 v1, 4, v44
	v_mul_u32_u24_e32 v1, 48, v1
	v_or_b32_e32 v1, v1, v14
	v_lshlrev_b32_e32 v66, 2, v1
	v_pack_b32_f16 v1, v33, v34
	v_pack_b32_f16 v14, v35, v30
	ds_write2_b32 v66, v1, v14 offset1:16
	v_pack_b32_f16 v1, v18, v26
	ds_write_b32 v66, v1 offset:128
	v_lshrrev_b32_e32 v1, 4, v42
	v_mul_u32_u24_e32 v1, 48, v1
	v_or_b32_e32 v1, v1, v15
	v_lshlrev_b32_e32 v67, 2, v1
	v_pack_b32_f16 v1, v36, v37
	v_pack_b32_f16 v14, v38, v31
	ds_write2_b32 v67, v1, v14 offset1:16
	v_pack_b32_f16 v1, v19, v20
	ds_write_b32 v67, v1 offset:128
	v_lshrrev_b32_e32 v1, 4, v46
	v_mul_u32_u24_e32 v1, 48, v1
	v_add_f16_e32 v40, v40, v48
	v_or_b32_e32 v1, v1, v16
	v_lshlrev_b32_e32 v68, 2, v1
	v_pack_b32_f16 v1, v39, v40
	v_pack_b32_f16 v14, v41, v32
	ds_write2_b32 v68, v1, v14 offset1:16
	v_pack_b32_f16 v1, v28, v21
	ds_write_b32 v68, v1 offset:128
	v_mul_u32_u24_sdwa v1, v2, s6 dst_sel:DWORD dst_unused:UNUSED_PAD src0_sel:WORD_0 src1_sel:DWORD
	v_lshrrev_b32_e32 v1, 21, v1
	v_mul_lo_u16_e32 v14, 48, v1
	v_sub_u16_e32 v26, v2, v14
	v_lshlrev_b16_e32 v50, 3, v26
	v_mov_b32_e32 v51, 0
	v_mul_u32_u24_sdwa v16, v44, s6 dst_sel:DWORD dst_unused:UNUSED_PAD src0_sel:WORD_0 src1_sel:DWORD
	v_lshl_add_u64 v[14:15], s[4:5], 0, v[50:51]
	v_lshrrev_b32_e32 v27, 21, v16
	s_waitcnt lgkmcnt(0)
	s_barrier
	global_load_dwordx2 v[14:15], v[14:15], off offset:128
	v_mul_lo_u16_e32 v16, 48, v27
	v_sub_u16_e32 v28, v44, v16
	v_lshlrev_b16_e32 v50, 3, v28
	v_mul_u32_u24_sdwa v18, v42, s6 dst_sel:DWORD dst_unused:UNUSED_PAD src0_sel:WORD_0 src1_sel:DWORD
	v_lshl_add_u64 v[16:17], s[4:5], 0, v[50:51]
	global_load_dwordx2 v[16:17], v[16:17], off offset:128
	v_lshrrev_b32_e32 v29, 21, v18
	v_mul_lo_u16_e32 v18, 48, v29
	v_sub_u16_e32 v30, v42, v18
	v_lshlrev_b16_e32 v50, 3, v30
	v_mul_u32_u24_sdwa v20, v46, s6 dst_sel:DWORD dst_unused:UNUSED_PAD src0_sel:WORD_0 src1_sel:DWORD
	v_lshl_add_u64 v[18:19], s[4:5], 0, v[50:51]
	global_load_dwordx2 v[18:19], v[18:19], off offset:128
	v_lshrrev_b32_e32 v31, 21, v20
	v_mul_lo_u16_e32 v20, 48, v31
	v_sub_u16_e32 v32, v46, v20
	v_lshlrev_b16_e32 v50, 3, v32
	v_lshl_add_u64 v[20:21], s[4:5], 0, v[50:51]
	global_load_dwordx2 v[20:21], v[20:21], off offset:128
	ds_read_b32 v33, v5
	ds_read_b32 v34, v5 offset:1296
	ds_read_b32 v35, v5 offset:2592
	ds_read_b32 v36, v5 offset:5184
	ds_read_b32 v37, v5 offset:6480
	ds_read_b32 v38, v5 offset:7776
	ds_read_b32 v39, v5 offset:9072
	ds_read_b32 v40, v5 offset:3888
	ds_read_b32 v41, v5 offset:10368
	s_waitcnt lgkmcnt(5)
	v_lshrrev_b32_e32 v43, 16, v36
	ds_read_b32 v47, v5 offset:11664
	ds_read_b32 v48, v5 offset:12960
	;; [unrolled: 1-line block ×3, first 2 shown]
	s_waitcnt lgkmcnt(7)
	v_lshrrev_b32_e32 v52, 16, v37
	s_waitcnt lgkmcnt(6)
	v_lshrrev_b32_e32 v54, 16, v38
	;; [unrolled: 2-line block ×5, first 2 shown]
	v_lshrrev_b32_e32 v56, 16, v39
	s_waitcnt lgkmcnt(0)
	v_lshrrev_b32_e32 v57, 16, v49
	s_movk_i32 s6, 0x90
	v_mad_legacy_u16 v1, v1, s6, v26
	s_barrier
	s_waitcnt vmcnt(3)
	v_mul_f16_sdwa v58, v43, v14 dst_sel:DWORD dst_unused:UNUSED_PAD src0_sel:DWORD src1_sel:WORD_1
	v_fma_f16 v58, v36, v14, -v58
	v_mul_f16_sdwa v36, v36, v14 dst_sel:DWORD dst_unused:UNUSED_PAD src0_sel:DWORD src1_sel:WORD_1
	v_fma_f16 v36, v43, v14, v36
	v_mul_f16_sdwa v43, v50, v15 dst_sel:DWORD dst_unused:UNUSED_PAD src0_sel:DWORD src1_sel:WORD_1
	v_fma_f16 v43, v41, v15, -v43
	v_mul_f16_sdwa v41, v41, v15 dst_sel:DWORD dst_unused:UNUSED_PAD src0_sel:DWORD src1_sel:WORD_1
	v_fma_f16 v41, v50, v15, v41
	s_waitcnt vmcnt(2)
	v_mul_f16_sdwa v50, v52, v16 dst_sel:DWORD dst_unused:UNUSED_PAD src0_sel:DWORD src1_sel:WORD_1
	v_fma_f16 v50, v37, v16, -v50
	v_mul_f16_sdwa v37, v37, v16 dst_sel:DWORD dst_unused:UNUSED_PAD src0_sel:DWORD src1_sel:WORD_1
	v_fma_f16 v37, v52, v16, v37
	v_mul_f16_sdwa v52, v53, v17 dst_sel:DWORD dst_unused:UNUSED_PAD src0_sel:DWORD src1_sel:WORD_1
	v_fma_f16 v52, v47, v17, -v52
	v_mul_f16_sdwa v47, v47, v17 dst_sel:DWORD dst_unused:UNUSED_PAD src0_sel:DWORD src1_sel:WORD_1
	v_fma_f16 v47, v53, v17, v47
	;; [unrolled: 9-line block ×4, first 2 shown]
	v_add_f16_e32 v57, v58, v43
	v_fma_f16 v57, v57, -0.5, v33
	v_sub_f16_e32 v59, v36, v41
	v_fma_f16 v60, v59, s0, v57
	v_fma_f16 v57, v59, s1, v57
	v_lshrrev_b32_e32 v59, 16, v33
	v_add_f16_e32 v61, v59, v36
	v_add_f16_e32 v36, v36, v41
	;; [unrolled: 1-line block ×3, first 2 shown]
	v_fma_f16 v36, v36, -0.5, v59
	v_add_f16_e32 v33, v33, v58
	v_sub_f16_e32 v41, v58, v43
	v_add_f16_e32 v33, v33, v43
	v_fma_f16 v43, v41, s1, v36
	v_fma_f16 v36, v41, s0, v36
	v_add_f16_e32 v41, v50, v52
	v_fma_f16 v41, v41, -0.5, v34
	v_sub_f16_e32 v58, v37, v47
	v_fma_f16 v59, v58, s0, v41
	v_fma_f16 v41, v58, s1, v41
	v_lshrrev_b32_e32 v58, 16, v34
	v_add_f16_e32 v62, v58, v37
	v_add_f16_e32 v37, v37, v47
	;; [unrolled: 1-line block ×3, first 2 shown]
	v_fma_f16 v37, v37, -0.5, v58
	v_sub_f16_e32 v47, v50, v52
	v_add_f16_e32 v34, v34, v50
	v_fma_f16 v50, v47, s1, v37
	v_fma_f16 v37, v47, s0, v37
	v_add_f16_e32 v47, v53, v54
	v_add_f16_e32 v34, v34, v52
	v_fma_f16 v47, v47, -0.5, v35
	v_sub_f16_e32 v52, v38, v48
	v_fma_f16 v58, v52, s0, v47
	v_fma_f16 v47, v52, s1, v47
	v_lshrrev_b32_e32 v52, 16, v35
	v_add_f16_e32 v63, v52, v38
	v_add_f16_e32 v38, v38, v48
	;; [unrolled: 1-line block ×3, first 2 shown]
	v_fma_f16 v38, v38, -0.5, v52
	v_sub_f16_e32 v48, v53, v54
	v_fma_f16 v52, v48, s1, v38
	v_fma_f16 v38, v48, s0, v38
	v_add_f16_e32 v48, v55, v56
	v_add_f16_e32 v35, v35, v53
	v_fma_f16 v48, v48, -0.5, v40
	v_sub_f16_e32 v53, v39, v49
	v_add_f16_e32 v35, v35, v54
	v_fma_f16 v54, v53, s0, v48
	v_fma_f16 v48, v53, s1, v48
	v_lshrrev_b32_e32 v53, 16, v40
	v_add_f16_e32 v71, v53, v39
	v_add_f16_e32 v76, v71, v49
	v_lshlrev_b32_e32 v71, 2, v1
	v_pack_b32_f16 v1, v57, v36
	v_pack_b32_f16 v26, v33, v61
	;; [unrolled: 1-line block ×3, first 2 shown]
	ds_write_b32 v71, v1 offset:384
	v_mad_legacy_u16 v1, v27, s6, v28
	ds_write2_b32 v71, v26, v33 offset1:48
	v_lshlrev_b32_e32 v72, 2, v1
	v_pack_b32_f16 v1, v34, v62
	v_pack_b32_f16 v26, v59, v50
	ds_write2_b32 v72, v1, v26 offset1:48
	v_pack_b32_f16 v1, v41, v37
	ds_write_b32 v72, v1 offset:384
	v_mad_legacy_u16 v1, v29, s6, v30
	v_add_f16_e32 v39, v39, v49
	v_lshlrev_b32_e32 v73, 2, v1
	v_pack_b32_f16 v1, v35, v63
	v_pack_b32_f16 v26, v58, v52
	v_fma_f16 v39, v39, -0.5, v53
	v_add_f16_e32 v40, v40, v55
	v_sub_f16_e32 v49, v55, v56
	ds_write2_b32 v73, v1, v26 offset1:48
	v_pack_b32_f16 v1, v47, v38
	v_add_f16_e32 v40, v40, v56
	v_fma_f16 v53, v49, s1, v39
	ds_write_b32 v73, v1 offset:384
	v_mad_legacy_u16 v1, v31, s6, v32
	v_fma_f16 v39, v49, s0, v39
	v_lshlrev_b32_e32 v75, 2, v1
	v_pack_b32_f16 v1, v40, v76
	v_pack_b32_f16 v26, v54, v53
	ds_write2_b32 v75, v1, v26 offset1:48
	v_pack_b32_f16 v1, v48, v39
	s_mov_b32 s6, 0xe38f
	ds_write_b32 v75, v1 offset:384
	v_mul_u32_u24_sdwa v1, v2, s6 dst_sel:DWORD dst_unused:UNUSED_PAD src0_sel:WORD_0 src1_sel:DWORD
	v_lshrrev_b32_e32 v1, 23, v1
	v_mul_lo_u16_e32 v26, 0x90, v1
	v_sub_u16_e32 v34, v2, v26
	v_lshlrev_b16_e32 v50, 3, v34
	v_lshl_add_u64 v[26:27], s[4:5], 0, v[50:51]
	s_waitcnt lgkmcnt(0)
	s_barrier
	global_load_dwordx2 v[26:27], v[26:27], off offset:512
	v_mul_u32_u24_sdwa v28, v44, s6 dst_sel:DWORD dst_unused:UNUSED_PAD src0_sel:WORD_0 src1_sel:DWORD
	v_lshrrev_b32_e32 v35, 23, v28
	v_mul_lo_u16_e32 v28, 0x90, v35
	v_sub_u16_e32 v36, v44, v28
	v_lshlrev_b16_e32 v50, 3, v36
	v_lshl_add_u64 v[28:29], s[4:5], 0, v[50:51]
	global_load_dwordx2 v[28:29], v[28:29], off offset:512
	v_mul_u32_u24_sdwa v30, v42, s6 dst_sel:DWORD dst_unused:UNUSED_PAD src0_sel:WORD_0 src1_sel:DWORD
	v_lshrrev_b32_e32 v43, 23, v30
	v_mul_lo_u16_e32 v30, 0x90, v43
	v_sub_u16_e32 v47, v42, v30
	v_lshlrev_b16_e32 v50, 3, v47
	v_mul_u32_u24_sdwa v32, v46, s6 dst_sel:DWORD dst_unused:UNUSED_PAD src0_sel:WORD_0 src1_sel:DWORD
	v_lshl_add_u64 v[30:31], s[4:5], 0, v[50:51]
	v_lshrrev_b32_e32 v49, 23, v32
	ds_read_b32 v37, v5 offset:6480
	ds_read_b32 v38, v5 offset:7776
	;; [unrolled: 1-line block ×5, first 2 shown]
	global_load_dwordx2 v[30:31], v[30:31], off offset:512
	v_mul_lo_u16_e32 v32, 0x90, v49
	v_sub_u16_e32 v52, v46, v32
	v_lshlrev_b16_e32 v50, 3, v52
	v_lshl_add_u64 v[32:33], s[4:5], 0, v[50:51]
	global_load_dwordx2 v[32:33], v[32:33], off offset:512
	s_waitcnt lgkmcnt(1)
	v_lshrrev_b32_e32 v48, 16, v40
	ds_read_b32 v53, v5 offset:10368
	s_movk_i32 s6, 0x1b0
	v_mad_legacy_u16 v1, v1, s6, v34
	v_lshlrev_b32_e32 v76, 2, v1
	v_lshrrev_b32_e32 v1, 16, v37
	s_waitcnt lgkmcnt(0)
	v_lshrrev_b32_e32 v56, 16, v53
	v_mad_legacy_u16 v35, v35, s6, v36
	v_lshlrev_b32_e32 v77, 2, v35
	v_lshrrev_b32_e32 v35, 16, v38
	s_waitcnt vmcnt(3)
	v_mul_f16_sdwa v50, v48, v26 dst_sel:DWORD dst_unused:UNUSED_PAD src0_sel:DWORD src1_sel:WORD_1
	v_fma_f16 v50, v40, v26, -v50
	v_mul_f16_sdwa v40, v40, v26 dst_sel:DWORD dst_unused:UNUSED_PAD src0_sel:DWORD src1_sel:WORD_1
	v_fma_f16 v40, v48, v26, v40
	ds_read_b32 v48, v5 offset:11664
	ds_read_b32 v54, v5 offset:12960
	;; [unrolled: 1-line block ×3, first 2 shown]
	ds_read_b32 v58, v5
	v_mul_f16_sdwa v57, v56, v27 dst_sel:DWORD dst_unused:UNUSED_PAD src0_sel:DWORD src1_sel:WORD_1
	v_fma_f16 v57, v53, v27, -v57
	v_mul_f16_sdwa v53, v53, v27 dst_sel:DWORD dst_unused:UNUSED_PAD src0_sel:DWORD src1_sel:WORD_1
	v_fma_f16 v53, v56, v27, v53
	s_waitcnt lgkmcnt(0)
	v_lshrrev_b32_e32 v60, 16, v58
	v_add_f16_e32 v61, v60, v40
	v_add_f16_e32 v61, v61, v53
	v_sub_f16_e32 v62, v40, v53
	v_add_f16_e32 v40, v40, v53
	v_add_f16_e32 v53, v50, v57
	v_fma_f16 v53, v53, -0.5, v58
	v_add_f16_e32 v58, v58, v50
	v_fma_f16 v40, v40, -0.5, v60
	v_add_f16_e32 v58, v58, v57
	v_sub_f16_e32 v50, v50, v57
	v_pack_b32_f16 v34, v58, v61
	v_fma_f16 v57, v62, s0, v53
	v_fma_f16 v58, v50, s1, v40
	v_pack_b32_f16 v57, v57, v58
	ds_read_b32 v56, v5 offset:1296
	ds_read_b32 v59, v5 offset:2592
	s_waitcnt lgkmcnt(0)
	s_barrier
	ds_write2_b32 v76, v34, v57 offset1:144
	s_waitcnt vmcnt(2)
	v_mul_f16_sdwa v34, v1, v28 dst_sel:DWORD dst_unused:UNUSED_PAD src0_sel:DWORD src1_sel:WORD_1
	v_fma_f16 v34, v37, v28, -v34
	v_mul_f16_sdwa v37, v37, v28 dst_sel:DWORD dst_unused:UNUSED_PAD src0_sel:DWORD src1_sel:WORD_1
	v_fma_f16 v1, v1, v28, v37
	v_lshrrev_b32_e32 v37, 16, v48
	v_mul_f16_sdwa v57, v37, v29 dst_sel:DWORD dst_unused:UNUSED_PAD src0_sel:DWORD src1_sel:WORD_1
	v_fma_f16 v57, v48, v29, -v57
	v_mul_f16_sdwa v48, v48, v29 dst_sel:DWORD dst_unused:UNUSED_PAD src0_sel:DWORD src1_sel:WORD_1
	v_fma_f16 v40, v50, s0, v40
	v_lshrrev_b32_e32 v50, 16, v56
	v_fma_f16 v37, v37, v29, v48
	v_fma_f16 v48, v62, s1, v53
	v_add_f16_e32 v53, v50, v1
	v_add_f16_e32 v53, v53, v37
	v_sub_f16_e32 v58, v1, v37
	v_add_f16_e32 v1, v1, v37
	v_add_f16_e32 v37, v34, v57
	v_fma_f16 v1, v1, -0.5, v50
	v_fma_f16 v37, v37, -0.5, v56
	v_add_f16_e32 v50, v56, v34
	v_sub_f16_e32 v34, v34, v57
	v_pack_b32_f16 v40, v48, v40
	v_add_f16_e32 v50, v50, v57
	ds_write_b32 v76, v40 offset:1152
	v_fma_f16 v40, v58, s0, v37
	v_fma_f16 v48, v34, s1, v1
	v_pack_b32_f16 v36, v50, v53
	v_pack_b32_f16 v40, v40, v48
	ds_write2_b32 v77, v36, v40 offset1:144
	s_waitcnt vmcnt(1)
	v_mul_f16_sdwa v36, v35, v30 dst_sel:DWORD dst_unused:UNUSED_PAD src0_sel:DWORD src1_sel:WORD_1
	v_fma_f16 v36, v38, v30, -v36
	v_mul_f16_sdwa v38, v38, v30 dst_sel:DWORD dst_unused:UNUSED_PAD src0_sel:DWORD src1_sel:WORD_1
	v_fma_f16 v35, v35, v30, v38
	v_lshrrev_b32_e32 v38, 16, v54
	v_mul_f16_sdwa v48, v54, v31 dst_sel:DWORD dst_unused:UNUSED_PAD src0_sel:DWORD src1_sel:WORD_1
	v_mul_f16_sdwa v40, v38, v31 dst_sel:DWORD dst_unused:UNUSED_PAD src0_sel:DWORD src1_sel:WORD_1
	v_fma_f16 v38, v38, v31, v48
	v_lshrrev_b32_e32 v48, 16, v39
	s_waitcnt vmcnt(0)
	v_mul_f16_sdwa v50, v48, v32 dst_sel:DWORD dst_unused:UNUSED_PAD src0_sel:DWORD src1_sel:WORD_1
	v_fma_f16 v40, v54, v31, -v40
	v_fma_f16 v50, v39, v32, -v50
	v_mul_f16_sdwa v39, v39, v32 dst_sel:DWORD dst_unused:UNUSED_PAD src0_sel:DWORD src1_sel:WORD_1
	v_fma_f16 v39, v48, v32, v39
	v_lshrrev_b32_e32 v48, 16, v55
	v_mul_f16_sdwa v54, v55, v33 dst_sel:DWORD dst_unused:UNUSED_PAD src0_sel:DWORD src1_sel:WORD_1
	v_fma_f16 v1, v34, s0, v1
	v_add_f16_e32 v34, v36, v40
	v_mul_f16_sdwa v53, v48, v33 dst_sel:DWORD dst_unused:UNUSED_PAD src0_sel:DWORD src1_sel:WORD_1
	v_fma_f16 v48, v48, v33, v54
	v_fma_f16 v34, v34, -0.5, v59
	v_sub_f16_e32 v54, v35, v38
	v_fma_f16 v53, v55, v33, -v53
	v_fma_f16 v55, v54, s0, v34
	v_fma_f16 v34, v54, s1, v34
	v_lshrrev_b32_e32 v54, 16, v59
	v_add_f16_e32 v56, v54, v35
	v_add_f16_e32 v35, v35, v38
	;; [unrolled: 1-line block ×3, first 2 shown]
	v_fma_f16 v35, v35, -0.5, v54
	v_add_f16_e32 v38, v59, v36
	v_sub_f16_e32 v36, v36, v40
	v_fma_f16 v37, v58, s1, v37
	v_add_f16_e32 v38, v38, v40
	v_fma_f16 v40, v36, s1, v35
	v_fma_f16 v35, v36, s0, v35
	v_add_f16_e32 v36, v50, v53
	v_fma_f16 v36, v36, -0.5, v41
	v_sub_f16_e32 v54, v39, v48
	v_pack_b32_f16 v1, v37, v1
	v_fma_f16 v57, v54, s0, v36
	v_fma_f16 v36, v54, s1, v36
	v_lshrrev_b32_e32 v54, 16, v41
	ds_write_b32 v77, v1 offset:1152
	v_mad_legacy_u16 v1, v43, s6, v47
	v_add_f16_e32 v58, v54, v39
	v_add_f16_e32 v39, v39, v48
	v_lshlrev_b32_e32 v79, 2, v1
	v_pack_b32_f16 v1, v38, v56
	v_pack_b32_f16 v37, v55, v40
	v_add_f16_e32 v58, v58, v48
	v_fma_f16 v39, v39, -0.5, v54
	v_add_f16_e32 v41, v41, v50
	v_sub_f16_e32 v48, v50, v53
	ds_write2_b32 v79, v1, v37 offset1:144
	v_pack_b32_f16 v1, v34, v35
	v_add_f16_e32 v41, v41, v53
	v_fma_f16 v50, v48, s1, v39
	ds_write_b32 v79, v1 offset:1152
	v_mad_legacy_u16 v1, v49, s6, v52
	v_fma_f16 v39, v48, s0, v39
	v_lshlrev_b32_e32 v80, 2, v1
	v_pack_b32_f16 v1, v41, v58
	v_pack_b32_f16 v34, v57, v50
	ds_write2_b32 v80, v1, v34 offset1:144
	v_pack_b32_f16 v1, v36, v39
	v_lshlrev_b32_e32 v50, 3, v2
	ds_write_b32 v80, v1 offset:1152
	s_waitcnt lgkmcnt(0)
	s_barrier
	global_load_dwordx2 v[34:35], v50, s[4:5] offset:1664
	s_movk_i32 s6, 0xff94
	s_mov_b32 s7, -1
	v_lshl_add_u64 v[36:37], v[2:3], 0, s[6:7]
	s_movk_i32 s6, 0x6c
	v_cmp_gt_u16_e32 vcc, s6, v2
	v_lshrrev_b16_e32 v1, 4, v42
	v_mul_u32_u24_e32 v1, 0x12f7, v1
	v_cndmask_b32_e32 v49, v37, v45, vcc
	v_cndmask_b32_e32 v48, v36, v44, vcc
	v_lshl_add_u64 v[36:37], v[48:49], 3, s[4:5]
	global_load_dwordx2 v[36:37], v[36:37], off offset:1664
	v_lshrrev_b32_e32 v1, 17, v1
	v_mul_lo_u16_e32 v3, 0x1b0, v1
	v_sub_u16_e32 v43, v42, v3
	v_lshl_add_u64 v[52:53], s[4:5], 0, v[50:51]
	v_lshlrev_b16_e32 v50, 3, v43
	v_lshl_add_u64 v[38:39], s[4:5], 0, v[50:51]
	v_lshrrev_b16_e32 v3, 4, v46
	global_load_dwordx2 v[38:39], v[38:39], off offset:1664
	v_mul_u32_u24_e32 v3, 0x12f7, v3
	v_lshrrev_b32_e32 v3, 17, v3
	v_mul_lo_u16_e32 v3, 0x1b0, v3
	v_sub_u16_e32 v47, v46, v3
	v_lshlrev_b16_e32 v50, 3, v47
	v_lshl_add_u64 v[40:41], s[4:5], 0, v[50:51]
	global_load_dwordx2 v[40:41], v[40:41], off offset:1664
	v_lshlrev_b32_e32 v50, 3, v44
	v_lshl_add_u64 v[44:45], s[4:5], 0, v[50:51]
	ds_read_b32 v3, v5 offset:5184
	ds_read_b32 v49, v5 offset:6480
	;; [unrolled: 1-line block ×4, first 2 shown]
	ds_read_b32 v55, v5
	ds_read_b32 v56, v5 offset:1296
	ds_read_b32 v57, v5 offset:2592
	;; [unrolled: 1-line block ×4, first 2 shown]
	s_waitcnt lgkmcnt(8)
	v_lshrrev_b32_e32 v59, 16, v3
	s_movk_i32 s6, 0x1000
	v_add_co_u32_e32 v44, vcc, s6, v44
	s_movk_i32 s7, 0x6b
	s_nop 0
	v_addc_co_u32_e32 v45, vcc, 0, v45, vcc
	v_cmp_lt_u16_e32 vcc, s7, v2
	ds_read_b32 v62, v5 offset:11664
	ds_read_b32 v63, v5 offset:12960
	;; [unrolled: 1-line block ×3, first 2 shown]
	s_waitcnt lgkmcnt(0)
	s_barrier
	s_movk_i32 s7, 0x510
	v_mad_legacy_u16 v1, v1, s7, v43
	s_waitcnt vmcnt(3)
	v_mul_f16_sdwa v60, v59, v34 dst_sel:DWORD dst_unused:UNUSED_PAD src0_sel:DWORD src1_sel:WORD_1
	v_fma_f16 v60, v3, v34, -v60
	v_mul_f16_sdwa v3, v3, v34 dst_sel:DWORD dst_unused:UNUSED_PAD src0_sel:DWORD src1_sel:WORD_1
	v_fma_f16 v59, v59, v34, v3
	v_lshrrev_b32_e32 v3, 16, v61
	v_mul_f16_sdwa v82, v3, v35 dst_sel:DWORD dst_unused:UNUSED_PAD src0_sel:DWORD src1_sel:WORD_1
	v_fma_f16 v82, v61, v35, -v82
	v_mul_f16_sdwa v61, v61, v35 dst_sel:DWORD dst_unused:UNUSED_PAD src0_sel:DWORD src1_sel:WORD_1
	v_fma_f16 v61, v3, v35, v61
	v_mov_b32_e32 v3, 0x510
	v_cndmask_b32_e32 v3, 0, v3, vcc
	v_add_lshl_u32 v3, v48, v3, 2
	v_lshrrev_b32_e32 v48, 16, v49
	s_waitcnt vmcnt(2)
	v_mul_f16_sdwa v83, v48, v36 dst_sel:DWORD dst_unused:UNUSED_PAD src0_sel:DWORD src1_sel:WORD_1
	v_fma_f16 v83, v49, v36, -v83
	v_mul_f16_sdwa v49, v49, v36 dst_sel:DWORD dst_unused:UNUSED_PAD src0_sel:DWORD src1_sel:WORD_1
	v_fma_f16 v48, v48, v36, v49
	v_lshrrev_b32_e32 v49, 16, v62
	v_mul_f16_sdwa v84, v49, v37 dst_sel:DWORD dst_unused:UNUSED_PAD src0_sel:DWORD src1_sel:WORD_1
	v_fma_f16 v84, v62, v37, -v84
	v_mul_f16_sdwa v62, v62, v37 dst_sel:DWORD dst_unused:UNUSED_PAD src0_sel:DWORD src1_sel:WORD_1
	v_fma_f16 v49, v49, v37, v62
	v_lshrrev_b32_e32 v62, 16, v50
	s_waitcnt vmcnt(1)
	v_mul_f16_sdwa v85, v62, v38 dst_sel:DWORD dst_unused:UNUSED_PAD src0_sel:DWORD src1_sel:WORD_1
	v_fma_f16 v85, v50, v38, -v85
	v_mul_f16_sdwa v50, v50, v38 dst_sel:DWORD dst_unused:UNUSED_PAD src0_sel:DWORD src1_sel:WORD_1
	v_fma_f16 v50, v62, v38, v50
	v_lshrrev_b32_e32 v62, 16, v63
	v_mul_f16_sdwa v86, v62, v39 dst_sel:DWORD dst_unused:UNUSED_PAD src0_sel:DWORD src1_sel:WORD_1
	v_fma_f16 v86, v63, v39, -v86
	v_mul_f16_sdwa v63, v63, v39 dst_sel:DWORD dst_unused:UNUSED_PAD src0_sel:DWORD src1_sel:WORD_1
	v_fma_f16 v62, v62, v39, v63
	;; [unrolled: 11-line block ×3, first 2 shown]
	v_add_f16_e32 v81, v60, v82
	v_fma_f16 v81, v81, -0.5, v55
	v_sub_f16_e32 v89, v59, v61
	v_fma_f16 v90, v89, s0, v81
	v_fma_f16 v81, v89, s1, v81
	v_lshrrev_b32_e32 v89, 16, v55
	v_add_f16_e32 v91, v89, v59
	v_add_f16_e32 v59, v59, v61
	v_fma_f16 v59, v59, -0.5, v89
	v_add_f16_e32 v55, v55, v60
	v_sub_f16_e32 v60, v60, v82
	v_add_f16_e32 v91, v91, v61
	v_fma_f16 v61, v60, s1, v59
	v_fma_f16 v59, v60, s0, v59
	v_add_f16_e32 v60, v83, v84
	v_add_f16_e32 v55, v55, v82
	v_fma_f16 v60, v60, -0.5, v56
	v_sub_f16_e32 v82, v48, v49
	v_fma_f16 v89, v82, s0, v60
	v_fma_f16 v60, v82, s1, v60
	v_lshrrev_b32_e32 v82, 16, v56
	v_add_f16_e32 v92, v82, v48
	v_add_f16_e32 v48, v48, v49
	v_add_f16_e32 v92, v92, v49
	v_fma_f16 v48, v48, -0.5, v82
	v_add_f16_e32 v49, v56, v83
	v_sub_f16_e32 v56, v83, v84
	v_fma_f16 v82, v56, s1, v48
	v_fma_f16 v48, v56, s0, v48
	v_add_f16_e32 v56, v85, v86
	v_fma_f16 v56, v56, -0.5, v57
	v_sub_f16_e32 v83, v50, v62
	v_add_f16_e32 v49, v49, v84
	v_fma_f16 v84, v83, s0, v56
	v_fma_f16 v56, v83, s1, v56
	v_lshrrev_b32_e32 v83, 16, v57
	v_add_f16_e32 v93, v83, v50
	v_add_f16_e32 v50, v50, v62
	v_add_f16_e32 v93, v93, v62
	v_fma_f16 v50, v50, -0.5, v83
	v_sub_f16_e32 v62, v85, v86
	v_fma_f16 v83, v62, s1, v50
	v_fma_f16 v50, v62, s0, v50
	v_add_f16_e32 v62, v87, v88
	v_pack_b32_f16 v55, v55, v91
	v_add_f16_e32 v57, v57, v85
	v_fma_f16 v62, v62, -0.5, v58
	v_sub_f16_e32 v85, v54, v63
	ds_write_b32 v5, v55
	v_pack_b32_f16 v55, v90, v61
	v_add_f16_e32 v57, v57, v86
	v_fma_f16 v86, v85, s0, v62
	v_fma_f16 v62, v85, s1, v62
	v_lshrrev_b32_e32 v85, 16, v58
	ds_write_b32 v5, v55 offset:1728
	v_pack_b32_f16 v55, v81, v59
	v_pack_b32_f16 v49, v49, v92
	v_add_f16_e32 v94, v85, v54
	v_add_f16_e32 v54, v54, v63
	;; [unrolled: 1-line block ×3, first 2 shown]
	ds_write_b32 v5, v55 offset:3456
	ds_write_b32 v3, v49
	v_pack_b32_f16 v49, v89, v82
	v_pack_b32_f16 v48, v60, v48
	v_lshlrev_b32_e32 v81, 2, v1
	v_pack_b32_f16 v1, v84, v83
	v_add_f16_e32 v94, v94, v63
	v_fma_f16 v54, v54, -0.5, v85
	v_add_f16_e32 v58, v58, v88
	v_sub_f16_e32 v63, v87, v88
	ds_write_b32 v3, v49 offset:1728
	ds_write_b32 v3, v48 offset:3456
	;; [unrolled: 1-line block ×3, first 2 shown]
	v_pack_b32_f16 v1, v56, v50
	v_fma_f16 v85, v63, s1, v54
	v_pack_b32_f16 v43, v57, v93
	ds_write_b32 v81, v1 offset:3456
	v_pack_b32_f16 v1, v58, v94
	v_lshlrev_b32_e32 v82, 2, v47
	v_fma_f16 v54, v63, s0, v54
	ds_write_b32 v81, v43
	ds_write_b32 v82, v1 offset:10368
	v_pack_b32_f16 v1, v86, v85
	ds_write_b32 v82, v1 offset:12096
	v_pack_b32_f16 v1, v62, v54
	ds_write_b32 v82, v1 offset:13824
	s_waitcnt lgkmcnt(0)
	s_barrier
	global_load_dwordx2 v[44:45], v[44:45], off offset:1024
	v_lshlrev_b32_e32 v50, 3, v42
	v_lshl_add_u64 v[48:49], s[4:5], 0, v[50:51]
	v_lshlrev_b32_e32 v50, 3, v46
	v_lshl_add_u64 v[42:43], s[4:5], 0, v[50:51]
	v_add_co_u32_e32 v42, vcc, s6, v42
	s_nop 1
	v_addc_co_u32_e32 v43, vcc, 0, v43, vcc
	global_load_dwordx2 v[42:43], v[42:43], off offset:1024
	v_add_co_u32_e32 v52, vcc, s6, v52
	s_nop 1
	v_addc_co_u32_e32 v53, vcc, 0, v53, vcc
	v_add_co_u32_e32 v54, vcc, s6, v48
	s_nop 1
	v_addc_co_u32_e32 v55, vcc, 0, v49, vcc
	global_load_dwordx2 v[46:47], v[54:55], off offset:1024
	global_load_dwordx2 v[48:49], v[52:53], off offset:1024
	ds_read_b32 v1, v5 offset:6480
	ds_read_b32 v50, v5 offset:7776
	;; [unrolled: 1-line block ×4, first 2 shown]
	s_waitcnt lgkmcnt(3)
	v_lshrrev_b32_e32 v52, 16, v1
	s_waitcnt vmcnt(3)
	v_mul_f16_sdwa v53, v52, v44 dst_sel:DWORD dst_unused:UNUSED_PAD src0_sel:DWORD src1_sel:WORD_1
	v_fma_f16 v58, v1, v44, -v53
	ds_read_b32 v53, v5 offset:11664
	v_mul_f16_sdwa v1, v1, v44 dst_sel:DWORD dst_unused:UNUSED_PAD src0_sel:DWORD src1_sel:WORD_1
	ds_read_b32 v56, v5 offset:12960
	ds_read_b32 v57, v5 offset:14256
	;; [unrolled: 1-line block ×4, first 2 shown]
	v_fma_f16 v1, v52, v44, v1
	s_waitcnt lgkmcnt(4)
	v_lshrrev_b32_e32 v52, 16, v53
	v_mul_f16_sdwa v60, v52, v45 dst_sel:DWORD dst_unused:UNUSED_PAD src0_sel:DWORD src1_sel:WORD_1
	v_fma_f16 v62, v53, v45, -v60
	v_mul_f16_sdwa v53, v53, v45 dst_sel:DWORD dst_unused:UNUSED_PAD src0_sel:DWORD src1_sel:WORD_1
	v_fma_f16 v86, v52, v45, v53
	v_add_f16_e32 v52, v58, v62
	s_waitcnt lgkmcnt(0)
	v_fma_f16 v53, v52, -0.5, v63
	v_sub_f16_e32 v60, v1, v86
	v_fma_f16 v52, v60, s0, v53
	v_fma_f16 v53, v60, s1, v53
	v_lshrrev_b32_e32 v60, 16, v54
	s_waitcnt vmcnt(2)
	v_mul_f16_sdwa v61, v60, v42 dst_sel:DWORD dst_unused:UNUSED_PAD src0_sel:DWORD src1_sel:WORD_1
	v_fma_f16 v92, v54, v42, -v61
	v_mul_f16_sdwa v54, v54, v42 dst_sel:DWORD dst_unused:UNUSED_PAD src0_sel:DWORD src1_sel:WORD_1
	v_fma_f16 v93, v60, v42, v54
	v_lshrrev_b32_e32 v54, 16, v57
	ds_read_b32 v91, v5 offset:3888
	ds_read_b32 v88, v5 offset:2592
	ds_read_b32 v83, v5
	v_mul_f16_sdwa v60, v54, v43 dst_sel:DWORD dst_unused:UNUSED_PAD src0_sel:DWORD src1_sel:WORD_1
	v_fma_f16 v94, v57, v43, -v60
	v_mul_f16_sdwa v57, v57, v43 dst_sel:DWORD dst_unused:UNUSED_PAD src0_sel:DWORD src1_sel:WORD_1
	v_fma_f16 v95, v54, v43, v57
	v_add_f16_e32 v54, v92, v94
	s_waitcnt lgkmcnt(2)
	v_fma_f16 v54, v54, -0.5, v91
	v_sub_f16_e32 v57, v93, v95
	v_fma_f16 v60, v57, s0, v54
	v_fma_f16 v61, v57, s1, v54
	v_lshrrev_b32_e32 v54, 16, v55
	s_waitcnt vmcnt(0)
	v_mul_f16_sdwa v57, v54, v48 dst_sel:DWORD dst_unused:UNUSED_PAD src0_sel:DWORD src1_sel:WORD_1
	v_fma_f16 v57, v55, v48, -v57
	v_mul_f16_sdwa v55, v55, v48 dst_sel:DWORD dst_unused:UNUSED_PAD src0_sel:DWORD src1_sel:WORD_1
	v_fma_f16 v54, v54, v48, v55
	v_lshrrev_b32_e32 v55, 16, v59
	v_mul_f16_sdwa v84, v55, v49 dst_sel:DWORD dst_unused:UNUSED_PAD src0_sel:DWORD src1_sel:WORD_1
	v_fma_f16 v84, v59, v49, -v84
	v_mul_f16_sdwa v59, v59, v49 dst_sel:DWORD dst_unused:UNUSED_PAD src0_sel:DWORD src1_sel:WORD_1
	v_fma_f16 v55, v55, v49, v59
	v_lshrrev_b32_e32 v59, 16, v50
	;; [unrolled: 5-line block ×3, first 2 shown]
	v_mul_f16_sdwa v85, v50, v47 dst_sel:DWORD dst_unused:UNUSED_PAD src0_sel:DWORD src1_sel:WORD_1
	v_fma_f16 v96, v56, v47, -v85
	v_mul_f16_sdwa v56, v56, v47 dst_sel:DWORD dst_unused:UNUSED_PAD src0_sel:DWORD src1_sel:WORD_1
	v_fma_f16 v97, v50, v47, v56
	s_waitcnt lgkmcnt(0)
	v_lshrrev_b32_e32 v56, 16, v83
	v_add_f16_e32 v50, v56, v54
	v_add_f16_e32 v50, v50, v55
	v_sub_f16_e32 v87, v54, v55
	v_add_f16_e32 v54, v54, v55
	v_add_f16_e32 v55, v57, v84
	v_fma_f16 v54, v54, -0.5, v56
	v_fma_f16 v56, v55, -0.5, v83
	v_add_f16_e32 v55, v83, v57
	v_sub_f16_e32 v57, v57, v84
	v_fma_f16 v83, v57, s1, v54
	v_fma_f16 v85, v57, s0, v54
	v_add_f16_e32 v57, v63, v58
	v_lshrrev_b32_e32 v63, 16, v63
	v_add_f16_e32 v54, v55, v84
	v_add_f16_e32 v84, v63, v1
	;; [unrolled: 1-line block ×3, first 2 shown]
	v_fma_f16 v1, v1, -0.5, v63
	v_sub_f16_e32 v58, v58, v62
	v_fma_f16 v55, v87, s0, v56
	v_fma_f16 v56, v87, s1, v56
	v_add_f16_e32 v84, v84, v86
	v_fma_f16 v86, v58, s1, v1
	v_fma_f16 v87, v58, s0, v1
	v_lshrrev_b32_e32 v1, 16, v88
	v_add_f16_e32 v58, v1, v59
	v_add_f16_e32 v89, v58, v97
	;; [unrolled: 1-line block ×4, first 2 shown]
	v_sub_f16_e32 v62, v59, v97
	v_fma_f16 v1, v58, -0.5, v1
	v_add_f16_e32 v58, v90, v96
	v_sub_f16_e32 v59, v90, v96
	v_fma_f16 v63, v58, -0.5, v88
	v_add_f16_e32 v58, v88, v90
	v_fma_f16 v88, v59, s1, v1
	v_fma_f16 v90, v59, s0, v1
	v_add_f16_e32 v1, v91, v92
	v_fma_f16 v59, v62, s0, v63
	v_fma_f16 v62, v62, s1, v63
	v_add_f16_e32 v63, v1, v94
	v_lshrrev_b32_e32 v1, 16, v91
	v_add_f16_e32 v91, v1, v93
	v_add_f16_e32 v93, v93, v95
	v_fma_f16 v1, v93, -0.5, v1
	v_sub_f16_e32 v92, v92, v94
	v_fma_f16 v93, v92, s1, v1
	v_fma_f16 v92, v92, s0, v1
	v_pack_b32_f16 v1, v54, v50
	ds_write_b32 v5, v1
	v_pack_b32_f16 v1, v55, v83
	ds_write_b32 v5, v1 offset:5184
	v_pack_b32_f16 v1, v56, v85
	ds_write_b32 v5, v1 offset:10368
	;; [unrolled: 2-line block ×3, first 2 shown]
	v_pack_b32_f16 v1, v52, v86
	v_add_f16_e32 v58, v58, v96
	ds_write_b32 v5, v1 offset:6480
	v_pack_b32_f16 v1, v53, v87
	ds_write_b32 v5, v1 offset:11664
	v_pack_b32_f16 v1, v58, v89
	;; [unrolled: 2-line block ×3, first 2 shown]
	v_add_f16_e32 v91, v91, v95
	ds_write_b32 v5, v1 offset:7776
	v_pack_b32_f16 v1, v62, v90
	ds_write_b32 v5, v1 offset:12960
	v_pack_b32_f16 v1, v63, v91
	ds_write_b32 v5, v1 offset:3888
	v_pack_b32_f16 v1, v60, v93
	ds_write_b32 v5, v1 offset:9072
	v_pack_b32_f16 v1, v61, v92
	ds_write_b32 v5, v1 offset:14256
	s_waitcnt lgkmcnt(0)
	s_barrier
	s_and_saveexec_b64 s[0:1], s[2:3]
	s_cbranch_execz .LBB0_9
; %bb.8:
	v_mov_b32_e32 v1, v51
	v_lshl_add_u64 v[94:95], s[12:13], 0, v[0:1]
	v_add_co_u32_e32 v96, vcc, 0x3000, v94
	s_mov_b64 s[4:5], 0x3cc0
	s_nop 0
	v_addc_co_u32_e32 v97, vcc, 0, v95, vcc
	global_load_dword v1, v[96:97], off offset:3264
	v_lshl_add_u64 v[96:97], v[94:95], 0, s[4:5]
	global_load_dword v51, v[96:97], off offset:972
	global_load_dword v102, v[96:97], off offset:1944
	;; [unrolled: 1-line block ×3, first 2 shown]
	s_movk_i32 s4, 0x4000
	v_add_co_u32_e32 v98, vcc, s4, v94
	s_movk_i32 s5, 0x5000
	s_nop 0
	v_addc_co_u32_e32 v99, vcc, 0, v95, vcc
	v_add_co_u32_e32 v100, vcc, s5, v94
	s_movk_i32 s4, 0x6000
	s_nop 0
	v_addc_co_u32_e32 v101, vcc, 0, v95, vcc
	global_load_dword v104, v[98:99], off offset:4028
	global_load_dword v105, v[100:101], off offset:904
	;; [unrolled: 1-line block ×4, first 2 shown]
	ds_read_b32 v96, v5
	global_load_dword v109, v[100:101], off offset:2848
	v_add_u32_e32 v108, 0x3c0, v0
	s_waitcnt lgkmcnt(0)
	v_lshrrev_b32_e32 v97, 16, v96
	s_waitcnt vmcnt(8)
	v_mul_f16_sdwa v98, v97, v1 dst_sel:DWORD dst_unused:UNUSED_PAD src0_sel:DWORD src1_sel:WORD_1
	v_mul_f16_sdwa v99, v96, v1 dst_sel:DWORD dst_unused:UNUSED_PAD src0_sel:DWORD src1_sel:WORD_1
	v_fma_f16 v96, v96, v1, -v98
	v_add_co_u32_e32 v98, vcc, s4, v94
	v_fma_f16 v1, v97, v1, v99
	s_nop 0
	v_addc_co_u32_e32 v99, vcc, 0, v95, vcc
	global_load_dword v113, v[98:99], off offset:1668
	v_pack_b32_f16 v1, v96, v1
	global_load_dword v100, v[100:101], off offset:3820
	ds_write_b32 v5, v1
	global_load_dword v111, v[98:99], off offset:696
	ds_read2_b32 v[96:97], v108 offset0:3 offset1:246
	ds_read_b32 v1, v0 offset:2916
	s_movk_i32 s4, 0x7000
	v_add_co_u32_e32 v94, vcc, s4, v94
	s_waitcnt lgkmcnt(1)
	v_lshrrev_b32_e32 v110, 16, v96
	s_waitcnt vmcnt(10)
	v_mul_f16_sdwa v101, v96, v51 dst_sel:DWORD dst_unused:UNUSED_PAD src0_sel:DWORD src1_sel:WORD_1
	v_lshrrev_b32_e32 v112, 16, v97
	s_waitcnt vmcnt(9)
	v_mul_f16_sdwa v114, v97, v102 dst_sel:DWORD dst_unused:UNUSED_PAD src0_sel:DWORD src1_sel:WORD_1
	s_waitcnt lgkmcnt(0)
	v_lshrrev_b32_e32 v115, 16, v1
	v_mul_f16_sdwa v117, v110, v51 dst_sel:DWORD dst_unused:UNUSED_PAD src0_sel:DWORD src1_sel:WORD_1
	v_fma_f16 v101, v110, v51, v101
	v_mul_f16_sdwa v110, v112, v102 dst_sel:DWORD dst_unused:UNUSED_PAD src0_sel:DWORD src1_sel:WORD_1
	s_waitcnt vmcnt(8)
	v_mul_f16_sdwa v116, v1, v103 dst_sel:DWORD dst_unused:UNUSED_PAD src0_sel:DWORD src1_sel:WORD_1
	v_fma_f16 v112, v112, v102, v114
	v_mul_f16_sdwa v114, v115, v103 dst_sel:DWORD dst_unused:UNUSED_PAD src0_sel:DWORD src1_sel:WORD_1
	v_fma_f16 v51, v96, v51, -v117
	v_fma_f16 v96, v97, v102, -v110
	v_fma_f16 v115, v115, v103, v116
	v_fma_f16 v1, v1, v103, -v114
	v_pack_b32_f16 v51, v51, v101
	v_pack_b32_f16 v96, v96, v112
	;; [unrolled: 1-line block ×3, first 2 shown]
	ds_write2_b32 v108, v51, v96 offset0:3 offset1:246
	ds_write_b32 v0, v1 offset:2916
	ds_read_b32 v1, v5 offset:3888
	global_load_dword v101, v[98:99], off offset:2640
	global_load_dword v102, v[98:99], off offset:3612
	v_add_u32_e32 v51, 0x12e0, v0
	v_addc_co_u32_e32 v95, vcc, 0, v95, vcc
	s_waitcnt lgkmcnt(0)
	v_lshrrev_b32_e32 v96, 16, v1
	s_waitcnt vmcnt(6)
	v_mul_f16_sdwa v97, v1, v107 dst_sel:DWORD dst_unused:UNUSED_PAD src0_sel:DWORD src1_sel:WORD_1
	v_mul_f16_sdwa v98, v96, v107 dst_sel:DWORD dst_unused:UNUSED_PAD src0_sel:DWORD src1_sel:WORD_1
	v_fma_f16 v96, v96, v107, v97
	v_fma_f16 v1, v1, v107, -v98
	v_pack_b32_f16 v1, v1, v96
	ds_write_b32 v5, v1 offset:3888
	ds_read2_b32 v[96:97], v51 offset0:7 offset1:250
	global_load_dword v1, v[94:95], off offset:488
	global_load_dword v98, v[94:95], off offset:1460
	ds_read_b32 v94, v0 offset:6804
	s_waitcnt lgkmcnt(1)
	v_lshrrev_b32_e32 v95, 16, v96
	v_mul_f16_sdwa v99, v96, v104 dst_sel:DWORD dst_unused:UNUSED_PAD src0_sel:DWORD src1_sel:WORD_1
	v_lshrrev_b32_e32 v103, 16, v97
	v_mul_f16_sdwa v107, v97, v105 dst_sel:DWORD dst_unused:UNUSED_PAD src0_sel:DWORD src1_sel:WORD_1
	s_waitcnt lgkmcnt(0)
	v_lshrrev_b32_e32 v108, 16, v94
	v_mul_f16_sdwa v112, v95, v104 dst_sel:DWORD dst_unused:UNUSED_PAD src0_sel:DWORD src1_sel:WORD_1
	v_fma_f16 v95, v95, v104, v99
	v_mul_f16_sdwa v99, v103, v105 dst_sel:DWORD dst_unused:UNUSED_PAD src0_sel:DWORD src1_sel:WORD_1
	v_mul_f16_sdwa v110, v94, v106 dst_sel:DWORD dst_unused:UNUSED_PAD src0_sel:DWORD src1_sel:WORD_1
	v_fma_f16 v103, v103, v105, v107
	v_mul_f16_sdwa v107, v108, v106 dst_sel:DWORD dst_unused:UNUSED_PAD src0_sel:DWORD src1_sel:WORD_1
	v_fma_f16 v96, v96, v104, -v112
	v_fma_f16 v97, v97, v105, -v99
	v_fma_f16 v108, v108, v106, v110
	v_fma_f16 v94, v94, v106, -v107
	v_pack_b32_f16 v95, v96, v95
	v_pack_b32_f16 v96, v97, v103
	;; [unrolled: 1-line block ×3, first 2 shown]
	ds_write2_b32 v51, v95, v96 offset0:7 offset1:250
	ds_write_b32 v0, v94 offset:6804
	ds_read_b32 v51, v5 offset:7776
	v_add_u32_e32 v96, 0x2200, v0
	s_waitcnt lgkmcnt(0)
	v_lshrrev_b32_e32 v94, 16, v51
	s_waitcnt vmcnt(7)
	v_mul_f16_sdwa v95, v51, v109 dst_sel:DWORD dst_unused:UNUSED_PAD src0_sel:DWORD src1_sel:WORD_1
	v_mul_f16_sdwa v97, v94, v109 dst_sel:DWORD dst_unused:UNUSED_PAD src0_sel:DWORD src1_sel:WORD_1
	v_fma_f16 v94, v94, v109, v95
	v_fma_f16 v51, v51, v109, -v97
	v_pack_b32_f16 v51, v51, v94
	ds_write_b32 v5, v51 offset:7776
	ds_read2_b32 v[94:95], v96 offset0:11 offset1:254
	ds_read_b32 v51, v0 offset:10692
	s_waitcnt lgkmcnt(1)
	v_lshrrev_b32_e32 v97, 16, v94
	s_waitcnt vmcnt(5)
	v_mul_f16_sdwa v99, v94, v100 dst_sel:DWORD dst_unused:UNUSED_PAD src0_sel:DWORD src1_sel:WORD_1
	v_lshrrev_b32_e32 v103, 16, v95
	s_waitcnt vmcnt(4)
	v_mul_f16_sdwa v104, v95, v111 dst_sel:DWORD dst_unused:UNUSED_PAD src0_sel:DWORD src1_sel:WORD_1
	s_waitcnt lgkmcnt(0)
	v_lshrrev_b32_e32 v105, 16, v51
	v_mul_f16_sdwa v107, v97, v100 dst_sel:DWORD dst_unused:UNUSED_PAD src0_sel:DWORD src1_sel:WORD_1
	v_fma_f16 v97, v97, v100, v99
	v_mul_f16_sdwa v99, v103, v111 dst_sel:DWORD dst_unused:UNUSED_PAD src0_sel:DWORD src1_sel:WORD_1
	v_mul_f16_sdwa v106, v51, v113 dst_sel:DWORD dst_unused:UNUSED_PAD src0_sel:DWORD src1_sel:WORD_1
	v_fma_f16 v103, v103, v111, v104
	v_mul_f16_sdwa v104, v105, v113 dst_sel:DWORD dst_unused:UNUSED_PAD src0_sel:DWORD src1_sel:WORD_1
	v_fma_f16 v94, v94, v100, -v107
	v_fma_f16 v95, v95, v111, -v99
	v_fma_f16 v105, v105, v113, v106
	v_fma_f16 v51, v51, v113, -v104
	v_pack_b32_f16 v94, v94, v97
	v_pack_b32_f16 v95, v95, v103
	;; [unrolled: 1-line block ×3, first 2 shown]
	ds_write2_b32 v96, v94, v95 offset0:11 offset1:254
	ds_write_b32 v0, v51 offset:10692
	ds_read_b32 v51, v5 offset:11664
	v_add_u32_e32 v96, 0x3140, v0
	s_waitcnt lgkmcnt(0)
	v_lshrrev_b32_e32 v94, 16, v51
	s_waitcnt vmcnt(3)
	v_mul_f16_sdwa v95, v51, v101 dst_sel:DWORD dst_unused:UNUSED_PAD src0_sel:DWORD src1_sel:WORD_1
	v_mul_f16_sdwa v97, v94, v101 dst_sel:DWORD dst_unused:UNUSED_PAD src0_sel:DWORD src1_sel:WORD_1
	v_fma_f16 v94, v94, v101, v95
	v_fma_f16 v51, v51, v101, -v97
	v_pack_b32_f16 v51, v51, v94
	ds_write_b32 v5, v51 offset:11664
	ds_read2_b32 v[94:95], v96 offset0:7 offset1:250
	s_waitcnt lgkmcnt(0)
	v_lshrrev_b32_e32 v51, 16, v94
	s_waitcnt vmcnt(2)
	v_mul_f16_sdwa v97, v94, v102 dst_sel:DWORD dst_unused:UNUSED_PAD src0_sel:DWORD src1_sel:WORD_1
	v_lshrrev_b32_e32 v99, 16, v95
	v_mul_f16_sdwa v100, v51, v102 dst_sel:DWORD dst_unused:UNUSED_PAD src0_sel:DWORD src1_sel:WORD_1
	v_fma_f16 v51, v51, v102, v97
	s_waitcnt vmcnt(1)
	v_mul_f16_sdwa v97, v99, v1 dst_sel:DWORD dst_unused:UNUSED_PAD src0_sel:DWORD src1_sel:WORD_1
	v_fma_f16 v94, v94, v102, -v100
	v_pack_b32_f16 v51, v94, v51
	v_fma_f16 v94, v95, v1, -v97
	ds_read_b32 v97, v0 offset:14580
	v_mul_f16_sdwa v95, v95, v1 dst_sel:DWORD dst_unused:UNUSED_PAD src0_sel:DWORD src1_sel:WORD_1
	v_fma_f16 v1, v99, v1, v95
	v_pack_b32_f16 v1, v94, v1
	ds_write2_b32 v96, v51, v1 offset0:7 offset1:250
	s_waitcnt lgkmcnt(1)
	v_lshrrev_b32_e32 v1, 16, v97
	s_waitcnt vmcnt(0)
	v_mul_f16_sdwa v51, v1, v98 dst_sel:DWORD dst_unused:UNUSED_PAD src0_sel:DWORD src1_sel:WORD_1
	v_mul_f16_sdwa v94, v97, v98 dst_sel:DWORD dst_unused:UNUSED_PAD src0_sel:DWORD src1_sel:WORD_1
	v_fma_f16 v51, v97, v98, -v51
	v_fma_f16 v1, v1, v98, v94
	v_pack_b32_f16 v1, v51, v1
	ds_write_b32 v0, v1 offset:14580
.LBB0_9:
	s_or_b64 exec, exec, s[0:1]
	v_lshrrev_b32_e32 v1, 16, v78
	s_waitcnt lgkmcnt(0)
	s_barrier
	s_and_saveexec_b64 s[0:1], s[2:3]
	s_cbranch_execz .LBB0_11
; %bb.10:
	v_add_u32_e32 v1, 0x780, v5
	ds_read2_b32 v[56:57], v1 offset0:6 offset1:249
	v_add_u32_e32 v1, 0xf00, v5
	ds_read2_b32 v[52:53], v1 offset0:12 offset1:255
	;; [unrolled: 2-line block ×6, first 2 shown]
	v_add_u32_e32 v1, 0x3500, v5
	ds_read2_b32 v[54:55], v5 offset1:243
	ds_read2_b32 v[24:25], v1 offset0:10 offset1:253
	s_waitcnt lgkmcnt(7)
	v_lshrrev_b32_e32 v85, 16, v56
	v_lshrrev_b32_e32 v84, 16, v57
	s_waitcnt lgkmcnt(6)
	v_lshrrev_b32_e32 v86, 16, v52
	s_waitcnt lgkmcnt(1)
	v_lshrrev_b32_e32 v50, 16, v54
	v_lshrrev_b32_e32 v83, 16, v55
	;; [unrolled: 1-line block ×11, first 2 shown]
	s_waitcnt lgkmcnt(0)
	v_lshrrev_b32_e32 v74, 16, v24
	v_lshrrev_b32_e32 v70, 16, v25
.LBB0_11:
	s_or_b64 exec, exec, s[0:1]
	s_barrier
	s_and_saveexec_b64 s[0:1], s[2:3]
	s_cbranch_execz .LBB0_13
; %bb.12:
	v_sub_f16_e32 v51, v85, v93
	v_sub_f16_e32 v74, v89, v74
	;; [unrolled: 1-line block ×13, first 2 shown]
	v_add_f16_e32 v93, v74, v60
	v_sub_f16_e32 v1, v86, v1
	v_sub_f16_e32 v25, v59, v25
	;; [unrolled: 1-line block ×3, first 2 shown]
	v_add_f16_e32 v99, v70, v61
	v_sub_f16_e32 v69, v87, v69
	v_sub_f16_e32 v104, v90, v22
	v_fma_f16 v85, v85, 2.0, -v51
	v_fma_f16 v74, v89, 2.0, -v74
	;; [unrolled: 1-line block ×8, first 2 shown]
	v_sub_f16_e32 v78, v51, v24
	v_add_f16_e32 v94, v1, v62
	s_movk_i32 s4, 0x39a8
	v_sub_f16_e32 v96, v92, v25
	v_add_f16_e32 v100, v69, v63
	v_sub_f16_e32 v74, v85, v74
	v_sub_f16_e32 v22, v54, v22
	v_fma_f16 v83, v83, 2.0, -v91
	v_fma_f16 v69, v87, 2.0, -v69
	;; [unrolled: 1-line block ×4, first 2 shown]
	v_sub_f16_e32 v70, v84, v70
	v_sub_f16_e32 v23, v55, v23
	v_fma_f16 v50, v50, 2.0, -v90
	v_fma_f16 v1, v86, 2.0, -v1
	;; [unrolled: 1-line block ×4, first 2 shown]
	v_fma_f16 v95, v93, s4, v94
	s_mov_b32 s5, 0xb9a8
	v_add_f16_e32 v52, v74, v22
	v_sub_f16_e32 v69, v83, v69
	v_sub_f16_e32 v25, v57, v25
	v_add_f16_e32 v53, v70, v23
	v_sub_f16_e32 v1, v50, v1
	v_sub_f16_e32 v24, v56, v24
	v_fma_f16 v62, v62, 2.0, -v94
	v_fma_f16 v60, v60, 2.0, -v93
	v_fma_f16 v95, v78, s4, v95
	v_fma_f16 v101, v99, s4, v100
	v_fma_f16 v105, v78, s4, v104
	v_sub_f16_e32 v59, v69, v25
	v_fma_f16 v87, v53, s4, v52
	v_sub_f16_e32 v58, v1, v24
	v_fma_f16 v51, v51, 2.0, -v78
	v_fma_f16 v78, v60, s5, v62
	v_fma_f16 v91, v91, 2.0, -v97
	v_fma_f16 v92, v92, 2.0, -v96
	;; [unrolled: 1-line block ×3, first 2 shown]
	v_fma_f16 v98, v96, s4, v97
	v_fma_f16 v101, v96, s4, v101
	s_movk_i32 s6, 0x3b64
	v_fma_f16 v105, v93, s5, v105
	v_fma_f16 v87, v59, s4, v87
	;; [unrolled: 1-line block ×5, first 2 shown]
	v_fma_f16 v61, v61, 2.0, -v99
	v_fma_f16 v63, v63, 2.0, -v100
	v_fma_f16 v51, v51, s5, v90
	v_fma_f16 v54, v54, 2.0, -v22
	v_fma_f16 v24, v56, 2.0, -v24
	v_fma_f16 v56, v83, 2.0, -v69
	v_fma_f16 v70, v84, 2.0, -v70
	v_fma_f16 v55, v55, 2.0, -v23
	v_fma_f16 v22, v22, 2.0, -v52
	v_fma_f16 v23, v23, 2.0, -v53
	v_fma_f16 v98, v99, s5, v98
	v_fma_f16 v102, v101, s6, v95
	s_movk_i32 s7, 0x361f
	v_fma_f16 v88, v52, 2.0, -v87
	v_fma_f16 v86, v53, s5, v86
	v_fma_f16 v93, v61, s5, v93
	;; [unrolled: 1-line block ×4, first 2 shown]
	v_sub_f16_e32 v24, v54, v24
	v_sub_f16_e32 v70, v56, v70
	v_fma_f16 v50, v50, 2.0, -v1
	v_fma_f16 v74, v85, 2.0, -v74
	;; [unrolled: 1-line block ×4, first 2 shown]
	v_fma_f16 v53, v23, s5, v22
	v_fma_f16 v1, v1, 2.0, -v58
	v_fma_f16 v102, v98, s7, v102
	v_fma_f16 v61, v92, s4, v61
	;; [unrolled: 1-line block ×3, first 2 shown]
	s_mov_b32 s17, 0xbb64
	v_add_f16_e32 v83, v70, v24
	v_sub_f16_e32 v74, v50, v74
	v_sub_f16_e32 v25, v55, v25
	v_fma_f16 v53, v52, s4, v53
	v_fma_f16 v52, v52, s5, v1
	v_fma_f16 v103, v95, 2.0, -v102
	v_fma_f16 v60, v61, s17, v60
	v_fma_f16 v84, v24, 2.0, -v83
	v_sub_f16_e32 v57, v74, v25
	v_fma_f16 v94, v94, 2.0, -v95
	v_fma_f16 v95, v97, 2.0, -v98
	;; [unrolled: 1-line block ×3, first 2 shown]
	v_fma_f16 v52, v23, s5, v52
	v_fma_f16 v23, v62, 2.0, -v78
	v_fma_f16 v59, v63, 2.0, -v61
	;; [unrolled: 1-line block ×4, first 2 shown]
	v_fma_f16 v106, v98, s6, v105
	v_fma_f16 v89, v58, 2.0, -v86
	v_fma_f16 v92, v61, s7, v78
	v_fma_f16 v99, v51, 2.0, -v60
	;; [unrolled: 2-line block ×3, first 2 shown]
	v_fma_f16 v58, v91, 2.0, -v93
	v_fma_f16 v61, v59, s17, v23
	v_fma_f16 v51, v90, 2.0, -v51
	v_sub_f16_e32 v54, v24, v25
	v_fma_f16 v98, v95, s6, v98
	v_fma_f16 v95, v95, s16, v100
	;; [unrolled: 1-line block ×4, first 2 shown]
	v_fma_f16 v55, v24, 2.0, -v54
	v_fma_f16 v24, v50, 2.0, -v74
	;; [unrolled: 1-line block ×3, first 2 shown]
	v_fma_f16 v95, v97, s17, v95
	v_fma_f16 v58, v59, s16, v58
	v_sub_f16_e32 v50, v24, v25
	v_fma_f16 v106, v101, s16, v106
	v_fma_f16 v92, v93, s6, v92
	v_fma_f16 v94, v94, 2.0, -v98
	v_fma_f16 v97, v100, 2.0, -v95
	;; [unrolled: 1-line block ×10, first 2 shown]
	v_lshlrev_b32_e32 v59, 2, v64
	v_pack_b32_f16 v25, v94, v97
	v_pack_b32_f16 v24, v22, v1
	;; [unrolled: 1-line block ×4, first 2 shown]
	ds_write_b128 v59, v[22:25]
	v_pack_b32_f16 v25, v103, v107
	v_pack_b32_f16 v24, v88, v89
	v_pack_b32_f16 v22, v84, v85
	v_pack_b32_f16 v23, v96, v99
	ds_write_b128 v59, v[22:25] offset:16
	v_pack_b32_f16 v25, v98, v95
	v_pack_b32_f16 v24, v53, v52
	v_pack_b32_f16 v22, v54, v50
	v_pack_b32_f16 v23, v61, v58
	ds_write_b128 v59, v[22:25] offset:32
	;; [unrolled: 5-line block ×3, first 2 shown]
.LBB0_13:
	s_or_b64 exec, exec, s[0:1]
	s_waitcnt lgkmcnt(0)
	s_barrier
	ds_read_b32 v1, v5
	ds_read_b32 v22, v5 offset:1296
	ds_read_b32 v23, v5 offset:2592
	;; [unrolled: 1-line block ×8, first 2 shown]
	s_waitcnt lgkmcnt(5)
	v_lshrrev_b32_e32 v55, 16, v24
	v_mul_f16_sdwa v83, v6, v55 dst_sel:DWORD dst_unused:UNUSED_PAD src0_sel:WORD_1 src1_sel:DWORD
	v_fma_f16 v83, v6, v24, v83
	v_mul_f16_sdwa v24, v6, v24 dst_sel:DWORD dst_unused:UNUSED_PAD src0_sel:WORD_1 src1_sel:DWORD
	s_waitcnt lgkmcnt(0)
	v_lshrrev_b32_e32 v59, 16, v54
	ds_read_b32 v56, v5 offset:11664
	ds_read_b32 v57, v5 offset:12960
	;; [unrolled: 1-line block ×3, first 2 shown]
	v_fma_f16 v6, v6, v55, -v24
	v_mul_f16_sdwa v24, v7, v59 dst_sel:DWORD dst_unused:UNUSED_PAD src0_sel:WORD_1 src1_sel:DWORD
	v_lshrrev_b32_e32 v61, 16, v25
	v_fma_f16 v24, v7, v54, v24
	v_mul_f16_sdwa v54, v7, v54 dst_sel:DWORD dst_unused:UNUSED_PAD src0_sel:WORD_1 src1_sel:DWORD
	v_fma_f16 v7, v7, v59, -v54
	v_mul_f16_sdwa v54, v8, v61 dst_sel:DWORD dst_unused:UNUSED_PAD src0_sel:WORD_1 src1_sel:DWORD
	s_waitcnt lgkmcnt(2)
	v_lshrrev_b32_e32 v62, 16, v56
	v_fma_f16 v54, v8, v25, v54
	v_mul_f16_sdwa v25, v8, v25 dst_sel:DWORD dst_unused:UNUSED_PAD src0_sel:WORD_1 src1_sel:DWORD
	v_lshrrev_b32_e32 v64, 16, v50
	v_fma_f16 v8, v8, v61, -v25
	v_mul_f16_sdwa v25, v9, v62 dst_sel:DWORD dst_unused:UNUSED_PAD src0_sel:WORD_1 src1_sel:DWORD
	v_mul_f16_sdwa v55, v9, v56 dst_sel:DWORD dst_unused:UNUSED_PAD src0_sel:WORD_1 src1_sel:DWORD
	v_fma_f16 v25, v9, v56, v25
	v_fma_f16 v9, v9, v62, -v55
	v_mul_f16_sdwa v55, v10, v64 dst_sel:DWORD dst_unused:UNUSED_PAD src0_sel:WORD_1 src1_sel:DWORD
	s_waitcnt lgkmcnt(1)
	v_lshrrev_b32_e32 v69, 16, v57
	v_fma_f16 v55, v10, v50, v55
	v_mul_f16_sdwa v50, v10, v50 dst_sel:DWORD dst_unused:UNUSED_PAD src0_sel:WORD_1 src1_sel:DWORD
	v_lshrrev_b32_e32 v74, 16, v51
	v_fma_f16 v10, v10, v64, -v50
	v_mul_f16_sdwa v50, v11, v69 dst_sel:DWORD dst_unused:UNUSED_PAD src0_sel:WORD_1 src1_sel:DWORD
	v_mul_f16_sdwa v56, v11, v57 dst_sel:DWORD dst_unused:UNUSED_PAD src0_sel:WORD_1 src1_sel:DWORD
	v_fma_f16 v50, v11, v57, v50
	v_fma_f16 v11, v11, v69, -v56
	v_mul_f16_sdwa v56, v12, v74 dst_sel:DWORD dst_unused:UNUSED_PAD src0_sel:WORD_1 src1_sel:DWORD
	s_waitcnt lgkmcnt(0)
	v_lshrrev_b32_e32 v78, 16, v58
	v_fma_f16 v56, v12, v51, v56
	v_mul_f16_sdwa v51, v12, v51 dst_sel:DWORD dst_unused:UNUSED_PAD src0_sel:WORD_1 src1_sel:DWORD
	v_fma_f16 v12, v12, v74, -v51
	v_mul_f16_sdwa v51, v13, v78 dst_sel:DWORD dst_unused:UNUSED_PAD src0_sel:WORD_1 src1_sel:DWORD
	v_fma_f16 v51, v13, v58, v51
	v_mul_f16_sdwa v57, v13, v58 dst_sel:DWORD dst_unused:UNUSED_PAD src0_sel:WORD_1 src1_sel:DWORD
	v_add_f16_e32 v58, v83, v24
	v_lshrrev_b32_e32 v53, 16, v1
	v_fma_f16 v13, v13, v78, -v57
	v_add_f16_e32 v57, v1, v83
	v_fma_f16 v1, v58, -0.5, v1
	v_sub_f16_e32 v58, v6, v7
	s_mov_b32 s0, 0xbaee
	s_movk_i32 s1, 0x3aee
	v_fma_f16 v59, v58, s0, v1
	v_fma_f16 v1, v58, s1, v1
	v_add_f16_e32 v58, v53, v6
	v_add_f16_e32 v6, v6, v7
	v_add_f16_e32 v58, v58, v7
	v_fma_f16 v6, v6, -0.5, v53
	v_sub_f16_e32 v7, v83, v24
	v_add_f16_e32 v53, v54, v25
	v_lshrrev_b32_e32 v60, 16, v22
	v_add_f16_e32 v57, v57, v24
	v_fma_f16 v24, v7, s1, v6
	v_fma_f16 v6, v7, s0, v6
	v_add_f16_e32 v7, v22, v54
	v_fma_f16 v22, v53, -0.5, v22
	v_sub_f16_e32 v53, v8, v9
	v_fma_f16 v61, v53, s0, v22
	v_fma_f16 v22, v53, s1, v22
	v_add_f16_e32 v53, v60, v8
	v_add_f16_e32 v8, v8, v9
	v_add_f16_e32 v53, v53, v9
	v_fma_f16 v8, v8, -0.5, v60
	v_sub_f16_e32 v9, v54, v25
	v_add_f16_e32 v54, v55, v50
	v_lshrrev_b32_e32 v63, 16, v23
	v_add_f16_e32 v7, v7, v25
	v_fma_f16 v25, v9, s1, v8
	v_fma_f16 v8, v9, s0, v8
	v_add_f16_e32 v9, v23, v55
	v_fma_f16 v23, v54, -0.5, v23
	v_sub_f16_e32 v54, v10, v11
	;; [unrolled: 15-line block ×3, first 2 shown]
	v_fma_f16 v62, v55, s0, v52
	v_fma_f16 v52, v55, s1, v52
	v_add_f16_e32 v55, v70, v12
	v_add_f16_e32 v12, v12, v13
	;; [unrolled: 1-line block ×3, first 2 shown]
	v_fma_f16 v12, v12, -0.5, v70
	v_sub_f16_e32 v13, v56, v51
	v_pack_b32_f16 v1, v1, v6
	v_add_f16_e32 v11, v11, v51
	v_fma_f16 v51, v13, s1, v12
	v_fma_f16 v12, v13, s0, v12
	s_barrier
	v_pack_b32_f16 v13, v57, v58
	v_pack_b32_f16 v24, v59, v24
	ds_write_b32 v65, v1 offset:128
	v_pack_b32_f16 v1, v7, v53
	v_pack_b32_f16 v6, v61, v25
	ds_write2_b32 v65, v13, v24 offset1:16
	ds_write2_b32 v66, v1, v6 offset1:16
	v_pack_b32_f16 v1, v22, v8
	ds_write_b32 v66, v1 offset:128
	v_pack_b32_f16 v1, v9, v54
	v_pack_b32_f16 v6, v60, v50
	ds_write2_b32 v67, v1, v6 offset1:16
	v_pack_b32_f16 v1, v23, v10
	ds_write_b32 v67, v1 offset:128
	v_pack_b32_f16 v1, v11, v55
	v_pack_b32_f16 v6, v62, v51
	ds_write2_b32 v68, v1, v6 offset1:16
	v_pack_b32_f16 v1, v52, v12
	ds_write_b32 v68, v1 offset:128
	s_waitcnt lgkmcnt(0)
	s_barrier
	ds_read_b32 v1, v5
	ds_read_b32 v6, v5 offset:1296
	ds_read_b32 v7, v5 offset:2592
	;; [unrolled: 1-line block ×8, first 2 shown]
	s_waitcnt lgkmcnt(5)
	v_lshrrev_b32_e32 v23, 16, v8
	v_mul_f16_sdwa v61, v14, v23 dst_sel:DWORD dst_unused:UNUSED_PAD src0_sel:WORD_1 src1_sel:DWORD
	v_fma_f16 v61, v14, v8, v61
	v_mul_f16_sdwa v8, v14, v8 dst_sel:DWORD dst_unused:UNUSED_PAD src0_sel:WORD_1 src1_sel:DWORD
	s_waitcnt lgkmcnt(0)
	v_lshrrev_b32_e32 v51, 16, v22
	ds_read_b32 v24, v5 offset:11664
	ds_read_b32 v25, v5 offset:12960
	;; [unrolled: 1-line block ×3, first 2 shown]
	v_fma_f16 v8, v14, v23, -v8
	v_mul_f16_sdwa v14, v15, v51 dst_sel:DWORD dst_unused:UNUSED_PAD src0_sel:WORD_1 src1_sel:DWORD
	v_lshrrev_b32_e32 v53, 16, v9
	v_fma_f16 v14, v15, v22, v14
	v_mul_f16_sdwa v22, v15, v22 dst_sel:DWORD dst_unused:UNUSED_PAD src0_sel:WORD_1 src1_sel:DWORD
	v_fma_f16 v15, v15, v51, -v22
	v_mul_f16_sdwa v22, v16, v53 dst_sel:DWORD dst_unused:UNUSED_PAD src0_sel:WORD_1 src1_sel:DWORD
	s_waitcnt lgkmcnt(2)
	v_lshrrev_b32_e32 v54, 16, v24
	v_fma_f16 v22, v16, v9, v22
	v_mul_f16_sdwa v9, v16, v9 dst_sel:DWORD dst_unused:UNUSED_PAD src0_sel:WORD_1 src1_sel:DWORD
	v_lshrrev_b32_e32 v56, 16, v10
	v_fma_f16 v9, v16, v53, -v9
	v_mul_f16_sdwa v16, v17, v54 dst_sel:DWORD dst_unused:UNUSED_PAD src0_sel:WORD_1 src1_sel:DWORD
	v_mul_f16_sdwa v23, v17, v24 dst_sel:DWORD dst_unused:UNUSED_PAD src0_sel:WORD_1 src1_sel:DWORD
	v_fma_f16 v16, v17, v24, v16
	v_fma_f16 v17, v17, v54, -v23
	v_mul_f16_sdwa v23, v18, v56 dst_sel:DWORD dst_unused:UNUSED_PAD src0_sel:WORD_1 src1_sel:DWORD
	s_waitcnt lgkmcnt(1)
	v_lshrrev_b32_e32 v57, 16, v25
	v_fma_f16 v23, v18, v10, v23
	v_mul_f16_sdwa v10, v18, v10 dst_sel:DWORD dst_unused:UNUSED_PAD src0_sel:WORD_1 src1_sel:DWORD
	v_lshrrev_b32_e32 v59, 16, v11
	v_fma_f16 v10, v18, v56, -v10
	v_mul_f16_sdwa v18, v19, v57 dst_sel:DWORD dst_unused:UNUSED_PAD src0_sel:WORD_1 src1_sel:DWORD
	v_mul_f16_sdwa v24, v19, v25 dst_sel:DWORD dst_unused:UNUSED_PAD src0_sel:WORD_1 src1_sel:DWORD
	v_fma_f16 v18, v19, v25, v18
	v_fma_f16 v19, v19, v57, -v24
	v_mul_f16_sdwa v24, v20, v59 dst_sel:DWORD dst_unused:UNUSED_PAD src0_sel:WORD_1 src1_sel:DWORD
	s_waitcnt lgkmcnt(0)
	v_lshrrev_b32_e32 v60, 16, v50
	v_fma_f16 v24, v20, v11, v24
	v_mul_f16_sdwa v11, v20, v11 dst_sel:DWORD dst_unused:UNUSED_PAD src0_sel:WORD_1 src1_sel:DWORD
	v_fma_f16 v11, v20, v59, -v11
	v_mul_f16_sdwa v20, v21, v60 dst_sel:DWORD dst_unused:UNUSED_PAD src0_sel:WORD_1 src1_sel:DWORD
	v_fma_f16 v20, v21, v50, v20
	v_mul_f16_sdwa v25, v21, v50 dst_sel:DWORD dst_unused:UNUSED_PAD src0_sel:WORD_1 src1_sel:DWORD
	v_add_f16_e32 v50, v61, v14
	v_lshrrev_b32_e32 v13, 16, v1
	v_fma_f16 v21, v21, v60, -v25
	v_add_f16_e32 v25, v1, v61
	v_fma_f16 v1, v50, -0.5, v1
	v_sub_f16_e32 v50, v8, v15
	v_fma_f16 v51, v50, s0, v1
	v_fma_f16 v1, v50, s1, v1
	v_add_f16_e32 v50, v13, v8
	v_add_f16_e32 v8, v8, v15
	v_add_f16_e32 v50, v50, v15
	v_fma_f16 v8, v8, -0.5, v13
	v_sub_f16_e32 v13, v61, v14
	v_add_f16_e32 v15, v22, v16
	v_lshrrev_b32_e32 v52, 16, v6
	v_add_f16_e32 v25, v25, v14
	v_fma_f16 v14, v13, s1, v8
	v_fma_f16 v8, v13, s0, v8
	v_add_f16_e32 v13, v6, v22
	v_fma_f16 v6, v15, -0.5, v6
	v_sub_f16_e32 v15, v9, v17
	v_fma_f16 v53, v15, s0, v6
	v_fma_f16 v6, v15, s1, v6
	v_add_f16_e32 v15, v52, v9
	v_add_f16_e32 v9, v9, v17
	v_add_f16_e32 v13, v13, v16
	v_fma_f16 v9, v9, -0.5, v52
	v_sub_f16_e32 v16, v22, v16
	v_add_f16_e32 v22, v23, v18
	v_lshrrev_b32_e32 v55, 16, v7
	v_add_f16_e32 v15, v15, v17
	v_fma_f16 v17, v16, s1, v9
	v_fma_f16 v9, v16, s0, v9
	;; [unrolled: 15-line block ×3, first 2 shown]
	v_add_f16_e32 v18, v12, v24
	v_fma_f16 v12, v23, -0.5, v12
	v_sub_f16_e32 v23, v11, v21
	v_fma_f16 v54, v23, s0, v12
	v_fma_f16 v12, v23, s1, v12
	v_add_f16_e32 v23, v58, v11
	v_add_f16_e32 v11, v11, v21
	;; [unrolled: 1-line block ×3, first 2 shown]
	v_fma_f16 v11, v11, -0.5, v58
	v_sub_f16_e32 v20, v24, v20
	v_pack_b32_f16 v1, v1, v8
	v_add_f16_e32 v23, v23, v21
	v_fma_f16 v21, v20, s1, v11
	v_fma_f16 v11, v20, s0, v11
	s_barrier
	v_pack_b32_f16 v20, v25, v50
	v_pack_b32_f16 v14, v51, v14
	ds_write_b32 v71, v1 offset:384
	v_pack_b32_f16 v1, v13, v15
	v_pack_b32_f16 v8, v53, v17
	ds_write2_b32 v71, v20, v14 offset1:48
	ds_write2_b32 v72, v1, v8 offset1:48
	v_pack_b32_f16 v1, v6, v9
	ds_write_b32 v72, v1 offset:384
	v_pack_b32_f16 v1, v16, v22
	v_pack_b32_f16 v6, v52, v19
	ds_write2_b32 v73, v1, v6 offset1:48
	v_pack_b32_f16 v1, v7, v10
	ds_write_b32 v73, v1 offset:384
	v_pack_b32_f16 v1, v18, v23
	v_pack_b32_f16 v6, v54, v21
	ds_write2_b32 v75, v1, v6 offset1:48
	v_pack_b32_f16 v1, v12, v11
	ds_write_b32 v75, v1 offset:384
	s_waitcnt lgkmcnt(0)
	s_barrier
	ds_read_b32 v1, v5
	ds_read_b32 v6, v5 offset:1296
	ds_read_b32 v7, v5 offset:2592
	;; [unrolled: 1-line block ×8, first 2 shown]
	s_waitcnt lgkmcnt(5)
	v_lshrrev_b32_e32 v15, 16, v8
	v_mul_f16_sdwa v53, v26, v15 dst_sel:DWORD dst_unused:UNUSED_PAD src0_sel:WORD_1 src1_sel:DWORD
	v_fma_f16 v53, v26, v8, v53
	v_mul_f16_sdwa v8, v26, v8 dst_sel:DWORD dst_unused:UNUSED_PAD src0_sel:WORD_1 src1_sel:DWORD
	s_waitcnt lgkmcnt(0)
	v_lshrrev_b32_e32 v19, 16, v14
	ds_read_b32 v16, v5 offset:11664
	ds_read_b32 v17, v5 offset:12960
	;; [unrolled: 1-line block ×3, first 2 shown]
	v_fma_f16 v8, v26, v15, -v8
	v_mul_f16_sdwa v15, v27, v19 dst_sel:DWORD dst_unused:UNUSED_PAD src0_sel:WORD_1 src1_sel:DWORD
	v_lshrrev_b32_e32 v21, 16, v9
	v_fma_f16 v15, v27, v14, v15
	v_mul_f16_sdwa v14, v27, v14 dst_sel:DWORD dst_unused:UNUSED_PAD src0_sel:WORD_1 src1_sel:DWORD
	v_fma_f16 v14, v27, v19, -v14
	v_mul_f16_sdwa v19, v28, v21 dst_sel:DWORD dst_unused:UNUSED_PAD src0_sel:WORD_1 src1_sel:DWORD
	s_waitcnt lgkmcnt(2)
	v_lshrrev_b32_e32 v22, 16, v16
	v_fma_f16 v19, v28, v9, v19
	v_mul_f16_sdwa v9, v28, v9 dst_sel:DWORD dst_unused:UNUSED_PAD src0_sel:WORD_1 src1_sel:DWORD
	v_fma_f16 v9, v28, v21, -v9
	v_mul_f16_sdwa v21, v29, v22 dst_sel:DWORD dst_unused:UNUSED_PAD src0_sel:WORD_1 src1_sel:DWORD
	v_add_f16_e32 v28, v53, v15
	v_lshrrev_b32_e32 v13, 16, v1
	v_lshrrev_b32_e32 v24, 16, v10
	v_fma_f16 v21, v29, v16, v21
	v_mul_f16_sdwa v16, v29, v16 dst_sel:DWORD dst_unused:UNUSED_PAD src0_sel:WORD_1 src1_sel:DWORD
	v_add_f16_e32 v27, v1, v53
	v_fma_f16 v1, v28, -0.5, v1
	v_sub_f16_e32 v28, v8, v14
	v_fma_f16 v16, v29, v22, -v16
	v_mul_f16_sdwa v22, v30, v24 dst_sel:DWORD dst_unused:UNUSED_PAD src0_sel:WORD_1 src1_sel:DWORD
	v_fma_f16 v29, v28, s0, v1
	v_fma_f16 v1, v28, s1, v1
	v_add_f16_e32 v28, v13, v8
	v_add_f16_e32 v8, v8, v14
	s_waitcnt lgkmcnt(1)
	v_lshrrev_b32_e32 v25, 16, v17
	v_fma_f16 v22, v30, v10, v22
	v_mul_f16_sdwa v10, v30, v10 dst_sel:DWORD dst_unused:UNUSED_PAD src0_sel:WORD_1 src1_sel:DWORD
	v_add_f16_e32 v27, v27, v15
	v_fma_f16 v8, v8, -0.5, v13
	v_sub_f16_e32 v13, v53, v15
	v_add_f16_e32 v15, v19, v21
	v_lshrrev_b32_e32 v20, 16, v6
	v_fma_f16 v10, v30, v24, -v10
	v_mul_f16_sdwa v24, v31, v25 dst_sel:DWORD dst_unused:UNUSED_PAD src0_sel:WORD_1 src1_sel:DWORD
	v_add_f16_e32 v28, v28, v14
	v_fma_f16 v14, v13, s1, v8
	v_fma_f16 v8, v13, s0, v8
	v_add_f16_e32 v13, v6, v19
	v_fma_f16 v6, v15, -0.5, v6
	v_sub_f16_e32 v15, v9, v16
	v_fma_f16 v24, v31, v17, v24
	v_mul_f16_sdwa v17, v31, v17 dst_sel:DWORD dst_unused:UNUSED_PAD src0_sel:WORD_1 src1_sel:DWORD
	v_fma_f16 v30, v15, s0, v6
	v_fma_f16 v6, v15, s1, v6
	v_add_f16_e32 v15, v20, v9
	v_add_f16_e32 v9, v9, v16
	v_lshrrev_b32_e32 v51, 16, v11
	s_waitcnt lgkmcnt(0)
	v_lshrrev_b32_e32 v52, 16, v18
	v_fma_f16 v17, v31, v25, -v17
	v_add_f16_e32 v15, v15, v16
	v_fma_f16 v9, v9, -0.5, v20
	v_sub_f16_e32 v16, v19, v21
	v_add_f16_e32 v20, v22, v24
	v_lshrrev_b32_e32 v23, 16, v7
	v_mul_f16_sdwa v25, v32, v51 dst_sel:DWORD dst_unused:UNUSED_PAD src0_sel:WORD_1 src1_sel:DWORD
	v_mul_f16_sdwa v26, v33, v52 dst_sel:DWORD dst_unused:UNUSED_PAD src0_sel:WORD_1 src1_sel:DWORD
	v_fma_f16 v19, v16, s1, v9
	v_fma_f16 v9, v16, s0, v9
	v_add_f16_e32 v16, v7, v22
	v_fma_f16 v7, v20, -0.5, v7
	v_sub_f16_e32 v20, v10, v17
	v_fma_f16 v25, v32, v11, v25
	v_mul_f16_sdwa v11, v32, v11 dst_sel:DWORD dst_unused:UNUSED_PAD src0_sel:WORD_1 src1_sel:DWORD
	v_fma_f16 v26, v33, v18, v26
	v_mul_f16_sdwa v18, v33, v18 dst_sel:DWORD dst_unused:UNUSED_PAD src0_sel:WORD_1 src1_sel:DWORD
	v_add_f16_e32 v13, v13, v21
	v_fma_f16 v21, v20, s0, v7
	v_fma_f16 v7, v20, s1, v7
	v_add_f16_e32 v20, v23, v10
	v_add_f16_e32 v10, v10, v17
	v_fma_f16 v11, v32, v51, -v11
	v_fma_f16 v18, v33, v52, -v18
	v_add_f16_e32 v20, v20, v17
	v_fma_f16 v10, v10, -0.5, v23
	v_sub_f16_e32 v17, v22, v24
	v_add_f16_e32 v23, v25, v26
	v_lshrrev_b32_e32 v50, 16, v12
	v_fma_f16 v22, v17, s1, v10
	v_fma_f16 v10, v17, s0, v10
	v_add_f16_e32 v17, v12, v25
	v_fma_f16 v12, v23, -0.5, v12
	v_sub_f16_e32 v23, v11, v18
	v_add_f16_e32 v16, v16, v24
	v_fma_f16 v24, v23, s0, v12
	v_fma_f16 v12, v23, s1, v12
	v_add_f16_e32 v23, v50, v11
	v_add_f16_e32 v11, v11, v18
	;; [unrolled: 1-line block ×3, first 2 shown]
	v_fma_f16 v11, v11, -0.5, v50
	v_sub_f16_e32 v18, v25, v26
	v_pack_b32_f16 v1, v1, v8
	v_fma_f16 v25, v18, s1, v11
	v_fma_f16 v11, v18, s0, v11
	s_barrier
	v_pack_b32_f16 v18, v27, v28
	v_pack_b32_f16 v14, v29, v14
	ds_write_b32 v76, v1 offset:1152
	v_pack_b32_f16 v1, v13, v15
	v_pack_b32_f16 v8, v30, v19
	ds_write2_b32 v76, v18, v14 offset1:144
	ds_write2_b32 v77, v1, v8 offset1:144
	v_pack_b32_f16 v1, v6, v9
	ds_write_b32 v77, v1 offset:1152
	v_pack_b32_f16 v1, v16, v20
	v_pack_b32_f16 v6, v21, v22
	v_add_f16_e32 v17, v17, v26
	ds_write2_b32 v79, v1, v6 offset1:144
	v_pack_b32_f16 v1, v7, v10
	ds_write_b32 v79, v1 offset:1152
	v_pack_b32_f16 v1, v17, v23
	v_pack_b32_f16 v6, v24, v25
	ds_write2_b32 v80, v1, v6 offset1:144
	v_pack_b32_f16 v1, v12, v11
	ds_write_b32 v80, v1 offset:1152
	s_waitcnt lgkmcnt(0)
	s_barrier
	ds_read_b32 v1, v5
	ds_read_b32 v6, v5 offset:1296
	ds_read_b32 v7, v5 offset:2592
	;; [unrolled: 1-line block ×8, first 2 shown]
	s_waitcnt lgkmcnt(5)
	v_lshrrev_b32_e32 v15, 16, v8
	v_mul_f16_sdwa v29, v34, v15 dst_sel:DWORD dst_unused:UNUSED_PAD src0_sel:WORD_1 src1_sel:DWORD
	v_fma_f16 v29, v34, v8, v29
	v_mul_f16_sdwa v8, v34, v8 dst_sel:DWORD dst_unused:UNUSED_PAD src0_sel:WORD_1 src1_sel:DWORD
	s_waitcnt lgkmcnt(0)
	v_lshrrev_b32_e32 v19, 16, v14
	ds_read_b32 v16, v5 offset:11664
	ds_read_b32 v17, v5 offset:12960
	;; [unrolled: 1-line block ×3, first 2 shown]
	v_fma_f16 v8, v34, v15, -v8
	v_mul_f16_sdwa v15, v35, v19 dst_sel:DWORD dst_unused:UNUSED_PAD src0_sel:WORD_1 src1_sel:DWORD
	v_lshrrev_b32_e32 v21, 16, v9
	v_fma_f16 v15, v35, v14, v15
	v_mul_f16_sdwa v14, v35, v14 dst_sel:DWORD dst_unused:UNUSED_PAD src0_sel:WORD_1 src1_sel:DWORD
	v_fma_f16 v14, v35, v19, -v14
	v_mul_f16_sdwa v19, v36, v21 dst_sel:DWORD dst_unused:UNUSED_PAD src0_sel:WORD_1 src1_sel:DWORD
	s_waitcnt lgkmcnt(2)
	v_lshrrev_b32_e32 v22, 16, v16
	v_fma_f16 v19, v36, v9, v19
	v_mul_f16_sdwa v9, v36, v9 dst_sel:DWORD dst_unused:UNUSED_PAD src0_sel:WORD_1 src1_sel:DWORD
	v_fma_f16 v9, v36, v21, -v9
	v_mul_f16_sdwa v21, v37, v22 dst_sel:DWORD dst_unused:UNUSED_PAD src0_sel:WORD_1 src1_sel:DWORD
	v_lshrrev_b32_e32 v24, 16, v10
	v_fma_f16 v21, v37, v16, v21
	v_mul_f16_sdwa v16, v37, v16 dst_sel:DWORD dst_unused:UNUSED_PAD src0_sel:WORD_1 src1_sel:DWORD
	v_fma_f16 v16, v37, v22, -v16
	v_mul_f16_sdwa v22, v38, v24 dst_sel:DWORD dst_unused:UNUSED_PAD src0_sel:WORD_1 src1_sel:DWORD
	s_waitcnt lgkmcnt(1)
	v_lshrrev_b32_e32 v25, 16, v17
	v_fma_f16 v22, v38, v10, v22
	v_mul_f16_sdwa v10, v38, v10 dst_sel:DWORD dst_unused:UNUSED_PAD src0_sel:WORD_1 src1_sel:DWORD
	;; [unrolled: 11-line block ×3, first 2 shown]
	v_fma_f16 v11, v40, v27, -v11
	v_mul_f16_sdwa v27, v41, v28 dst_sel:DWORD dst_unused:UNUSED_PAD src0_sel:WORD_1 src1_sel:DWORD
	v_fma_f16 v27, v41, v18, v27
	v_mul_f16_sdwa v18, v41, v18 dst_sel:DWORD dst_unused:UNUSED_PAD src0_sel:WORD_1 src1_sel:DWORD
	v_add_f16_e32 v30, v29, v15
	v_lshrrev_b32_e32 v13, 16, v1
	v_fma_f16 v18, v41, v28, -v18
	v_add_f16_e32 v28, v1, v29
	v_fma_f16 v1, v30, -0.5, v1
	v_sub_f16_e32 v30, v8, v14
	v_fma_f16 v31, v30, s0, v1
	v_fma_f16 v1, v30, s1, v1
	v_add_f16_e32 v30, v13, v8
	v_add_f16_e32 v8, v8, v14
	;; [unrolled: 1-line block ×3, first 2 shown]
	v_fma_f16 v8, v8, -0.5, v13
	v_sub_f16_e32 v13, v29, v15
	v_add_f16_e32 v15, v19, v21
	v_lshrrev_b32_e32 v20, 16, v6
	v_add_f16_e32 v30, v30, v14
	v_fma_f16 v14, v13, s1, v8
	v_fma_f16 v8, v13, s0, v8
	v_add_f16_e32 v13, v6, v19
	v_fma_f16 v6, v15, -0.5, v6
	v_sub_f16_e32 v15, v9, v16
	v_fma_f16 v29, v15, s0, v6
	v_fma_f16 v6, v15, s1, v6
	v_add_f16_e32 v15, v20, v9
	v_add_f16_e32 v9, v9, v16
	;; [unrolled: 1-line block ×3, first 2 shown]
	v_fma_f16 v9, v9, -0.5, v20
	v_sub_f16_e32 v16, v19, v21
	v_add_f16_e32 v20, v22, v24
	v_lshrrev_b32_e32 v23, 16, v7
	v_fma_f16 v19, v16, s1, v9
	v_fma_f16 v9, v16, s0, v9
	v_add_f16_e32 v16, v7, v22
	v_fma_f16 v7, v20, -0.5, v7
	v_sub_f16_e32 v20, v10, v17
	v_add_f16_e32 v13, v13, v21
	v_fma_f16 v21, v20, s0, v7
	v_fma_f16 v7, v20, s1, v7
	v_add_f16_e32 v20, v23, v10
	v_add_f16_e32 v10, v10, v17
	v_add_f16_e32 v20, v20, v17
	v_fma_f16 v10, v10, -0.5, v23
	v_sub_f16_e32 v17, v22, v24
	v_add_f16_e32 v23, v25, v27
	v_lshrrev_b32_e32 v26, 16, v12
	v_fma_f16 v22, v17, s1, v10
	v_fma_f16 v10, v17, s0, v10
	v_add_f16_e32 v17, v12, v25
	v_fma_f16 v12, v23, -0.5, v12
	v_sub_f16_e32 v23, v11, v18
	v_add_f16_e32 v16, v16, v24
	v_fma_f16 v24, v23, s0, v12
	v_fma_f16 v12, v23, s1, v12
	v_add_f16_e32 v23, v26, v11
	v_add_f16_e32 v11, v11, v18
	;; [unrolled: 1-line block ×3, first 2 shown]
	v_fma_f16 v11, v11, -0.5, v26
	v_sub_f16_e32 v18, v25, v27
	v_pack_b32_f16 v1, v1, v8
	v_fma_f16 v25, v18, s1, v11
	v_fma_f16 v11, v18, s0, v11
	s_barrier
	v_pack_b32_f16 v18, v28, v30
	v_pack_b32_f16 v14, v31, v14
	ds_write_b32 v5, v1 offset:3456
	v_pack_b32_f16 v1, v13, v15
	ds_write_b32 v5, v18
	ds_write_b32 v5, v14 offset:1728
	ds_write_b32 v3, v1
	v_pack_b32_f16 v1, v29, v19
	ds_write_b32 v3, v1 offset:1728
	v_pack_b32_f16 v1, v6, v9
	ds_write_b32 v3, v1 offset:3456
	v_pack_b32_f16 v1, v16, v20
	ds_write_b32 v81, v1
	v_pack_b32_f16 v1, v21, v22
	v_add_f16_e32 v17, v17, v27
	ds_write_b32 v81, v1 offset:1728
	v_pack_b32_f16 v1, v7, v10
	ds_write_b32 v81, v1 offset:3456
	v_pack_b32_f16 v1, v17, v23
	;; [unrolled: 2-line block ×4, first 2 shown]
	ds_write_b32 v82, v1 offset:13824
	s_waitcnt lgkmcnt(0)
	s_barrier
	ds_read_b32 v1, v5
	ds_read_b32 v3, v5 offset:1296
	ds_read_b32 v6, v5 offset:2592
	ds_read_b32 v7, v5 offset:5184
	ds_read_b32 v8, v5 offset:6480
	ds_read_b32 v9, v5 offset:7776
	ds_read_b32 v10, v5 offset:9072
	ds_read_b32 v11, v5 offset:3888
	ds_read_b32 v13, v5 offset:10368
	s_waitcnt lgkmcnt(5)
	v_lshrrev_b32_e32 v14, 16, v7
	v_mul_f16_sdwa v28, v48, v14 dst_sel:DWORD dst_unused:UNUSED_PAD src0_sel:WORD_1 src1_sel:DWORD
	v_fma_f16 v28, v48, v7, v28
	v_mul_f16_sdwa v7, v48, v7 dst_sel:DWORD dst_unused:UNUSED_PAD src0_sel:WORD_1 src1_sel:DWORD
	s_waitcnt lgkmcnt(0)
	v_lshrrev_b32_e32 v18, 16, v13
	ds_read_b32 v15, v5 offset:11664
	ds_read_b32 v16, v5 offset:12960
	;; [unrolled: 1-line block ×3, first 2 shown]
	v_fma_f16 v7, v48, v14, -v7
	v_mul_f16_sdwa v14, v49, v18 dst_sel:DWORD dst_unused:UNUSED_PAD src0_sel:WORD_1 src1_sel:DWORD
	v_lshrrev_b32_e32 v20, 16, v8
	v_fma_f16 v14, v49, v13, v14
	v_mul_f16_sdwa v13, v49, v13 dst_sel:DWORD dst_unused:UNUSED_PAD src0_sel:WORD_1 src1_sel:DWORD
	v_fma_f16 v13, v49, v18, -v13
	v_mul_f16_sdwa v18, v44, v20 dst_sel:DWORD dst_unused:UNUSED_PAD src0_sel:WORD_1 src1_sel:DWORD
	s_waitcnt lgkmcnt(2)
	v_lshrrev_b32_e32 v21, 16, v15
	v_fma_f16 v18, v44, v8, v18
	v_mul_f16_sdwa v8, v44, v8 dst_sel:DWORD dst_unused:UNUSED_PAD src0_sel:WORD_1 src1_sel:DWORD
	v_fma_f16 v8, v44, v20, -v8
	v_mul_f16_sdwa v20, v45, v21 dst_sel:DWORD dst_unused:UNUSED_PAD src0_sel:WORD_1 src1_sel:DWORD
	v_lshrrev_b32_e32 v23, 16, v9
	v_fma_f16 v20, v45, v15, v20
	v_mul_f16_sdwa v15, v45, v15 dst_sel:DWORD dst_unused:UNUSED_PAD src0_sel:WORD_1 src1_sel:DWORD
	v_fma_f16 v15, v45, v21, -v15
	v_mul_f16_sdwa v21, v46, v23 dst_sel:DWORD dst_unused:UNUSED_PAD src0_sel:WORD_1 src1_sel:DWORD
	s_waitcnt lgkmcnt(1)
	v_lshrrev_b32_e32 v24, 16, v16
	v_fma_f16 v21, v46, v9, v21
	v_mul_f16_sdwa v9, v46, v9 dst_sel:DWORD dst_unused:UNUSED_PAD src0_sel:WORD_1 src1_sel:DWORD
	;; [unrolled: 11-line block ×3, first 2 shown]
	v_fma_f16 v10, v42, v26, -v10
	v_mul_f16_sdwa v26, v43, v27 dst_sel:DWORD dst_unused:UNUSED_PAD src0_sel:WORD_1 src1_sel:DWORD
	v_fma_f16 v26, v43, v17, v26
	v_mul_f16_sdwa v17, v43, v17 dst_sel:DWORD dst_unused:UNUSED_PAD src0_sel:WORD_1 src1_sel:DWORD
	v_add_f16_e32 v29, v28, v14
	v_lshrrev_b32_e32 v12, 16, v1
	v_fma_f16 v17, v43, v27, -v17
	v_add_f16_e32 v27, v1, v28
	v_fma_f16 v1, v29, -0.5, v1
	v_sub_f16_e32 v29, v7, v13
	v_fma_f16 v30, v29, s0, v1
	v_fma_f16 v1, v29, s1, v1
	v_add_f16_e32 v29, v12, v7
	v_add_f16_e32 v7, v7, v13
	;; [unrolled: 1-line block ×3, first 2 shown]
	v_fma_f16 v7, v7, -0.5, v12
	v_sub_f16_e32 v12, v28, v14
	v_add_f16_e32 v14, v18, v20
	v_lshrrev_b32_e32 v19, 16, v3
	v_add_f16_e32 v29, v29, v13
	v_fma_f16 v13, v12, s1, v7
	v_fma_f16 v7, v12, s0, v7
	v_add_f16_e32 v12, v3, v18
	v_fma_f16 v3, v14, -0.5, v3
	v_sub_f16_e32 v14, v8, v15
	v_fma_f16 v28, v14, s0, v3
	v_fma_f16 v3, v14, s1, v3
	v_add_f16_e32 v14, v19, v8
	v_add_f16_e32 v8, v8, v15
	;; [unrolled: 1-line block ×4, first 2 shown]
	v_fma_f16 v8, v8, -0.5, v19
	v_sub_f16_e32 v15, v18, v20
	v_add_f16_e32 v19, v21, v23
	v_pack_b32_f16 v1, v1, v7
	v_lshrrev_b32_e32 v22, 16, v6
	v_fma_f16 v18, v15, s1, v8
	v_fma_f16 v8, v15, s0, v8
	v_add_f16_e32 v15, v6, v21
	v_fma_f16 v6, v19, -0.5, v6
	v_sub_f16_e32 v19, v9, v16
	ds_write_b32 v5, v1 offset:10368
	v_pack_b32_f16 v1, v12, v14
	v_fma_f16 v20, v19, s0, v6
	v_fma_f16 v6, v19, s1, v6
	v_add_f16_e32 v19, v22, v9
	v_add_f16_e32 v9, v9, v16
	ds_write_b32 v5, v1 offset:1296
	v_pack_b32_f16 v1, v28, v18
	v_add_f16_e32 v15, v15, v23
	v_add_f16_e32 v19, v19, v16
	v_fma_f16 v9, v9, -0.5, v22
	v_sub_f16_e32 v16, v21, v23
	v_add_f16_e32 v22, v24, v26
	ds_write_b32 v5, v1 offset:6480
	v_pack_b32_f16 v1, v3, v8
	v_lshrrev_b32_e32 v25, 16, v11
	v_fma_f16 v21, v16, s1, v9
	v_fma_f16 v9, v16, s0, v9
	v_add_f16_e32 v16, v11, v24
	v_fma_f16 v11, v22, -0.5, v11
	v_sub_f16_e32 v22, v10, v17
	ds_write_b32 v5, v1 offset:11664
	v_pack_b32_f16 v1, v15, v19
	v_fma_f16 v23, v22, s0, v11
	v_fma_f16 v11, v22, s1, v11
	v_add_f16_e32 v22, v25, v10
	v_add_f16_e32 v10, v10, v17
	ds_write_b32 v5, v1 offset:2592
	v_pack_b32_f16 v1, v20, v21
	v_add_f16_e32 v16, v16, v26
	v_add_f16_e32 v22, v22, v17
	v_fma_f16 v10, v10, -0.5, v25
	v_sub_f16_e32 v17, v24, v26
	ds_write_b32 v5, v1 offset:7776
	v_pack_b32_f16 v1, v6, v9
	v_fma_f16 v24, v17, s1, v10
	ds_write_b32 v5, v1 offset:12960
	v_pack_b32_f16 v1, v16, v22
	v_fma_f16 v10, v17, s0, v10
	ds_write_b32 v5, v1 offset:3888
	v_pack_b32_f16 v1, v23, v24
	v_pack_b32_f16 v17, v27, v29
	;; [unrolled: 1-line block ×3, first 2 shown]
	ds_write_b32 v5, v1 offset:9072
	v_pack_b32_f16 v1, v11, v10
	ds_write_b32 v5, v17
	ds_write_b32 v5, v13 offset:5184
	ds_write_b32 v5, v1 offset:14256
	s_waitcnt lgkmcnt(0)
	s_barrier
	s_and_b64 exec, exec, s[2:3]
	s_cbranch_execz .LBB0_15
; %bb.14:
	global_load_dword v17, v0, s[12:13]
	global_load_dword v3, v0, s[12:13] offset:972
	global_load_dword v13, v0, s[12:13] offset:1944
	;; [unrolled: 1-line block ×3, first 2 shown]
	v_mov_b32_e32 v1, 0
	ds_read_b32 v15, v0 offset:2916
	ds_read_b32 v16, v0 offset:6804
	;; [unrolled: 1-line block ×3, first 2 shown]
	ds_read_b32 v23, v5
	ds_read_b32 v21, v5 offset:3888
	ds_read_b32 v20, v5 offset:7776
	;; [unrolled: 1-line block ×4, first 2 shown]
	v_mad_u64_u32 v[8:9], s[0:1], s10, v4, 0
	v_lshl_add_u64 v[10:11], s[12:13], 0, v[0:1]
	s_waitcnt lgkmcnt(4)
	v_lshrrev_b32_e32 v1, 16, v23
	v_mov_b32_e32 v22, v9
	s_mov_b32 s6, 0xa88f4696
	s_mov_b32 s7, 0x3f30db20
	s_movk_i32 s10, 0x1ff
	v_mov_b32_e32 v6, s14
	s_movk_i32 s14, 0xffe
	s_mov_b32 s16, 0x8000
	v_mov_b32_e32 v12, 0x7c00
	v_mov_b32_e32 v7, s15
	s_movk_i32 s15, 0x40f
	s_movk_i32 s17, 0x1000
	s_waitcnt vmcnt(3)
	v_mul_f16_sdwa v9, v1, v17 dst_sel:DWORD dst_unused:UNUSED_PAD src0_sel:DWORD src1_sel:WORD_1
	v_mul_f16_sdwa v24, v23, v17 dst_sel:DWORD dst_unused:UNUSED_PAD src0_sel:DWORD src1_sel:WORD_1
	v_fma_f16 v9, v23, v17, v9
	v_fma_f16 v1, v17, v1, -v24
	v_cvt_f32_f16_e32 v17, v9
	v_cvt_f32_f16_e32 v1, v1
	v_mad_u64_u32 v[22:23], s[0:1], s11, v4, v[22:23]
	v_mov_b32_e32 v9, v22
	v_cvt_f64_f32_e32 v[22:23], v17
	v_cvt_f64_f32_e32 v[24:25], v1
	v_mul_f64 v[22:23], v[22:23], s[6:7]
	v_mul_f64 v[24:25], v[24:25], s[6:7]
	v_and_or_b32 v1, v23, s10, v22
	v_and_or_b32 v22, v25, s10, v24
	v_cmp_ne_u32_e32 vcc, 0, v1
	v_lshrrev_b32_e32 v4, 8, v23
	v_bfe_u32 v17, v23, 20, 11
	v_cndmask_b32_e64 v1, 0, 1, vcc
	v_cmp_ne_u32_e32 vcc, 0, v22
	v_and_b32_sdwa v28, v23, s16 dst_sel:DWORD dst_unused:UNUSED_PAD src0_sel:WORD_1 src1_sel:DWORD
	v_lshrrev_b32_e32 v23, 8, v25
	v_bfe_u32 v24, v25, 20, 11
	v_sub_u32_e32 v26, 0x3f1, v17
	v_cndmask_b32_e64 v22, 0, 1, vcc
	v_and_or_b32 v1, v4, s14, v1
	v_sub_u32_e32 v27, 0x3f1, v24
	v_med3_i32 v4, v26, 0, 13
	v_and_or_b32 v22, v23, s14, v22
	v_or_b32_e32 v26, 0x1000, v1
	v_med3_i32 v23, v27, 0, 13
	v_or_b32_e32 v29, 0x1000, v22
	v_lshrrev_b32_e32 v31, v4, v26
	v_add_u32_e32 v17, 0xfffffc10, v17
	v_cmp_ne_u32_e32 vcc, 0, v1
	v_lshrrev_b32_e32 v32, v23, v29
	v_lshlrev_b32_e32 v4, v4, v31
	v_lshl_or_b32 v27, v17, 12, v1
	v_cndmask_b32_e64 v1, 0, 1, vcc
	v_lshlrev_b32_e32 v23, v23, v32
	v_cmp_ne_u32_e32 vcc, v4, v26
	v_add_u32_e32 v24, 0xfffffc10, v24
	v_lshl_or_b32 v30, v24, 12, v22
	v_cndmask_b32_e64 v4, 0, 1, vcc
	v_cmp_ne_u32_e32 vcc, v23, v29
	v_or_b32_e32 v4, v31, v4
	v_lshl_or_b32 v1, v1, 9, v12
	v_cndmask_b32_e64 v23, 0, 1, vcc
	v_cmp_gt_i32_e32 vcc, 1, v17
	v_or_b32_e32 v23, v32, v23
	v_lshl_add_u64 v[6:7], v[8:9], 2, v[6:7]
	v_cndmask_b32_e32 v4, v27, v4, vcc
	v_cmp_gt_i32_e32 vcc, 1, v24
	v_and_b32_e32 v26, 7, v4
	v_cmp_eq_u32_e64 s[0:1], 3, v26
	v_cndmask_b32_e32 v23, v30, v23, vcc
	v_cmp_lt_i32_e32 vcc, 5, v26
	v_lshrrev_b32_e32 v4, 2, v4
	v_and_b32_e32 v27, 7, v23
	s_or_b64 vcc, s[0:1], vcc
	v_cmp_lt_i32_e64 s[2:3], 5, v27
	v_cmp_eq_u32_e64 s[4:5], 3, v27
	v_addc_co_u32_e32 v4, vcc, 0, v4, vcc
	v_lshrrev_b32_e32 v23, 2, v23
	s_or_b64 vcc, s[4:5], s[2:3]
	v_addc_co_u32_e32 v23, vcc, 0, v23, vcc
	v_cmp_gt_i32_e32 vcc, 31, v17
	s_mov_b32 s2, 0xffff
	s_mul_i32 s3, s9, 0x3cc
	v_cndmask_b32_e32 v4, v12, v4, vcc
	v_cmp_gt_i32_e32 vcc, 31, v24
	s_nop 1
	v_cndmask_b32_e32 v23, v12, v23, vcc
	v_cmp_eq_u32_e32 vcc, s15, v17
	v_lshrrev_b32_e32 v17, 16, v25
	s_nop 0
	v_cndmask_b32_e32 v1, v4, v1, vcc
	v_cmp_ne_u32_e32 vcc, 0, v22
	v_bitop3_b32 v1, v28, s2, v1 bitop3:0xc8
	s_nop 0
	v_cndmask_b32_e64 v4, 0, 1, vcc
	v_lshl_or_b32 v4, v4, 9, v12
	v_cmp_eq_u32_e32 vcc, s15, v24
	s_nop 1
	v_cndmask_b32_e32 v4, v23, v4, vcc
	v_mad_u64_u32 v[22:23], s[0:1], s8, v2, 0
	v_and_or_b32 v17, v17, s16, v4
	v_mov_b32_e32 v4, v23
	s_waitcnt lgkmcnt(1)
	v_mad_u64_u32 v[24:25], s[0:1], s9, v2, v[4:5]
	v_add_u32_e32 v2, 0x3c0, v0
	ds_read2_b32 v[26:27], v2 offset0:3 offset1:246
	v_mov_b32_e32 v23, v24
	v_lshl_or_b32 v1, v17, 16, v1
	v_lshl_add_u64 v[6:7], v[22:23], 2, v[6:7]
	global_store_dword v[6:7], v1, off
	s_waitcnt lgkmcnt(0)
	v_lshrrev_b32_e32 v2, 16, v26
	s_waitcnt vmcnt(3)
	v_mul_f16_sdwa v4, v2, v3 dst_sel:DWORD dst_unused:UNUSED_PAD src0_sel:DWORD src1_sel:WORD_1
	v_fma_f16 v4, v26, v3, v4
	v_cvt_f32_f16_e32 v4, v4
	v_cvt_f64_f32_e32 v[8:9], v4
	v_mul_f64 v[8:9], v[8:9], s[6:7]
	v_and_or_b32 v1, v9, s10, v8
	v_cmp_ne_u32_e32 vcc, 0, v1
	v_lshrrev_b32_e32 v4, 8, v9
	v_bfe_u32 v8, v9, 20, 11
	v_cndmask_b32_e64 v1, 0, 1, vcc
	v_and_or_b32 v1, v4, s14, v1
	v_sub_u32_e32 v17, 0x3f1, v8
	v_or_b32_e32 v4, 0x1000, v1
	v_med3_i32 v17, v17, 0, 13
	v_lshrrev_b32_e32 v22, v17, v4
	v_lshlrev_b32_e32 v17, v17, v22
	v_cmp_ne_u32_e32 vcc, v17, v4
	v_add_u32_e32 v8, 0xfffffc10, v8
	v_lshl_or_b32 v17, v8, 12, v1
	v_cndmask_b32_e64 v4, 0, 1, vcc
	v_or_b32_e32 v4, v22, v4
	v_cmp_gt_i32_e32 vcc, 1, v8
	s_nop 1
	v_cndmask_b32_e32 v4, v17, v4, vcc
	v_and_b32_e32 v17, 7, v4
	v_cmp_lt_i32_e32 vcc, 5, v17
	v_cmp_eq_u32_e64 s[0:1], 3, v17
	v_mul_f16_sdwa v17, v26, v3 dst_sel:DWORD dst_unused:UNUSED_PAD src0_sel:DWORD src1_sel:WORD_1
	v_fma_f16 v2, v3, v2, -v17
	v_cvt_f32_f16_e32 v2, v2
	v_lshrrev_b32_e32 v4, 2, v4
	s_or_b64 vcc, s[0:1], vcc
	v_addc_co_u32_e32 v4, vcc, 0, v4, vcc
	v_cmp_gt_i32_e32 vcc, 31, v8
	v_cvt_f64_f32_e32 v[2:3], v2
	v_mul_f64 v[2:3], v[2:3], s[6:7]
	v_cndmask_b32_e32 v4, v12, v4, vcc
	v_cmp_ne_u32_e32 vcc, 0, v1
	v_and_or_b32 v2, v3, s10, v2
	s_nop 0
	v_cndmask_b32_e64 v1, 0, 1, vcc
	v_lshl_or_b32 v1, v1, 9, v12
	v_cmp_eq_u32_e32 vcc, s15, v8
	v_lshrrev_b32_e32 v8, 8, v3
	s_nop 0
	v_cndmask_b32_e32 v1, v4, v1, vcc
	v_cmp_ne_u32_e32 vcc, 0, v2
	v_and_b32_sdwa v4, v9, s16 dst_sel:DWORD dst_unused:UNUSED_PAD src0_sel:WORD_1 src1_sel:DWORD
	v_bfe_u32 v9, v3, 20, 11
	v_cndmask_b32_e64 v2, 0, 1, vcc
	v_and_or_b32 v2, v8, s14, v2
	v_sub_u32_e32 v17, 0x3f1, v9
	v_or_b32_e32 v8, 0x1000, v2
	v_med3_i32 v17, v17, 0, 13
	v_lshrrev_b32_e32 v22, v17, v8
	v_lshlrev_b32_e32 v17, v17, v22
	v_cmp_ne_u32_e32 vcc, v17, v8
	v_add_u32_e32 v9, 0xfffffc10, v9
	v_lshl_or_b32 v17, v9, 12, v2
	v_cndmask_b32_e64 v8, 0, 1, vcc
	v_or_b32_e32 v8, v22, v8
	v_cmp_gt_i32_e32 vcc, 1, v9
	v_lshrrev_b32_e32 v3, 16, v3
	v_bitop3_b32 v1, v4, s2, v1 bitop3:0xc8
	v_cndmask_b32_e32 v8, v17, v8, vcc
	v_and_b32_e32 v17, 7, v8
	v_cmp_lt_i32_e32 vcc, 5, v17
	v_cmp_eq_u32_e64 s[0:1], 3, v17
	v_lshrrev_b32_e32 v8, 2, v8
	s_or_b64 vcc, s[0:1], vcc
	v_addc_co_u32_e32 v8, vcc, 0, v8, vcc
	v_cmp_gt_i32_e32 vcc, 31, v9
	s_nop 1
	v_cndmask_b32_e32 v8, v12, v8, vcc
	v_cmp_ne_u32_e32 vcc, 0, v2
	s_nop 1
	v_cndmask_b32_e64 v2, 0, 1, vcc
	v_lshl_or_b32 v2, v2, 9, v12
	v_cmp_eq_u32_e32 vcc, s15, v9
	s_nop 1
	v_cndmask_b32_e32 v2, v8, v2, vcc
	v_and_or_b32 v2, v3, s16, v2
	v_lshl_or_b32 v4, v2, 16, v1
	v_mov_b32_e32 v1, 0x3cc
	v_lshrrev_b32_e32 v8, 16, v27
	v_mad_u64_u32 v[2:3], s[0:1], s8, v1, v[6:7]
	s_waitcnt vmcnt(2)
	v_mul_f16_sdwa v6, v8, v13 dst_sel:DWORD dst_unused:UNUSED_PAD src0_sel:DWORD src1_sel:WORD_1
	v_fma_f16 v6, v27, v13, v6
	v_cvt_f32_f16_e32 v6, v6
	v_add_u32_e32 v3, s3, v3
	global_store_dword v[2:3], v4, off
	v_cvt_f64_f32_e32 v[6:7], v6
	v_mul_f64 v[6:7], v[6:7], s[6:7]
	v_and_or_b32 v4, v7, s10, v6
	v_cmp_ne_u32_e32 vcc, 0, v4
	v_lshrrev_b32_e32 v6, 8, v7
	v_bfe_u32 v9, v7, 20, 11
	v_cndmask_b32_e64 v4, 0, 1, vcc
	v_and_or_b32 v4, v6, s14, v4
	v_sub_u32_e32 v17, 0x3f1, v9
	v_or_b32_e32 v6, 0x1000, v4
	v_med3_i32 v17, v17, 0, 13
	v_lshrrev_b32_e32 v22, v17, v6
	v_lshlrev_b32_e32 v17, v17, v22
	v_cmp_ne_u32_e32 vcc, v17, v6
	v_add_u32_e32 v9, 0xfffffc10, v9
	v_lshl_or_b32 v17, v9, 12, v4
	v_cndmask_b32_e64 v6, 0, 1, vcc
	v_or_b32_e32 v6, v22, v6
	v_cmp_gt_i32_e32 vcc, 1, v9
	s_nop 1
	v_cndmask_b32_e32 v6, v17, v6, vcc
	v_and_b32_e32 v17, 7, v6
	v_cmp_lt_i32_e32 vcc, 5, v17
	v_cmp_eq_u32_e64 s[0:1], 3, v17
	v_lshrrev_b32_e32 v6, 2, v6
	s_or_b64 vcc, s[0:1], vcc
	v_mul_f16_sdwa v17, v27, v13 dst_sel:DWORD dst_unused:UNUSED_PAD src0_sel:DWORD src1_sel:WORD_1
	v_addc_co_u32_e32 v6, vcc, 0, v6, vcc
	v_fma_f16 v8, v13, v8, -v17
	v_cmp_gt_i32_e32 vcc, 31, v9
	v_cvt_f32_f16_e32 v8, v8
	s_nop 0
	v_cndmask_b32_e32 v6, v12, v6, vcc
	v_cmp_ne_u32_e32 vcc, 0, v4
	s_nop 1
	v_cndmask_b32_e64 v4, 0, 1, vcc
	v_lshl_or_b32 v4, v4, 9, v12
	v_cmp_eq_u32_e32 vcc, s15, v9
	v_and_b32_sdwa v9, v7, s16 dst_sel:DWORD dst_unused:UNUSED_PAD src0_sel:WORD_1 src1_sel:DWORD
	s_nop 0
	v_cndmask_b32_e32 v4, v6, v4, vcc
	v_cvt_f64_f32_e32 v[6:7], v8
	v_mul_f64 v[6:7], v[6:7], s[6:7]
	v_and_or_b32 v6, v7, s10, v6
	v_cmp_ne_u32_e32 vcc, 0, v6
	v_lshrrev_b32_e32 v8, 8, v7
	v_bfe_u32 v13, v7, 20, 11
	v_cndmask_b32_e64 v6, 0, 1, vcc
	v_and_or_b32 v6, v8, s14, v6
	v_sub_u32_e32 v17, 0x3f1, v13
	v_or_b32_e32 v8, 0x1000, v6
	v_med3_i32 v17, v17, 0, 13
	v_lshrrev_b32_e32 v22, v17, v8
	v_lshlrev_b32_e32 v17, v17, v22
	v_cmp_ne_u32_e32 vcc, v17, v8
	v_add_u32_e32 v13, 0xfffffc10, v13
	v_lshl_or_b32 v17, v13, 12, v6
	v_cndmask_b32_e64 v8, 0, 1, vcc
	v_or_b32_e32 v8, v22, v8
	v_cmp_gt_i32_e32 vcc, 1, v13
	v_lshrrev_b32_e32 v7, 16, v7
	v_bitop3_b32 v4, v9, s2, v4 bitop3:0xc8
	v_cndmask_b32_e32 v8, v17, v8, vcc
	v_and_b32_e32 v17, 7, v8
	v_cmp_lt_i32_e32 vcc, 5, v17
	v_cmp_eq_u32_e64 s[0:1], 3, v17
	v_lshrrev_b32_e32 v8, 2, v8
	s_or_b64 vcc, s[0:1], vcc
	v_addc_co_u32_e32 v8, vcc, 0, v8, vcc
	v_cmp_gt_i32_e32 vcc, 31, v13
	v_mad_u64_u32 v[2:3], s[0:1], s8, v1, v[2:3]
	s_nop 0
	v_cndmask_b32_e32 v8, v12, v8, vcc
	v_cmp_ne_u32_e32 vcc, 0, v6
	v_add_u32_e32 v3, s3, v3
	s_nop 0
	v_cndmask_b32_e64 v6, 0, 1, vcc
	v_cmp_eq_u32_e32 vcc, s15, v13
	global_load_dword v13, v0, s[12:13] offset:3888
	v_lshl_or_b32 v6, v6, 9, v12
	v_cndmask_b32_e32 v6, v8, v6, vcc
	v_and_or_b32 v6, v7, s16, v6
	v_lshrrev_b32_e32 v8, 16, v15
	v_lshl_or_b32 v4, v6, 16, v4
	s_waitcnt vmcnt(3)
	v_mul_f16_sdwa v6, v8, v14 dst_sel:DWORD dst_unused:UNUSED_PAD src0_sel:DWORD src1_sel:WORD_1
	v_fma_f16 v6, v15, v14, v6
	v_cvt_f32_f16_e32 v6, v6
	global_store_dword v[2:3], v4, off
	v_mul_f16_sdwa v15, v15, v14 dst_sel:DWORD dst_unused:UNUSED_PAD src0_sel:DWORD src1_sel:WORD_1
	v_fma_f16 v8, v14, v8, -v15
	v_cvt_f64_f32_e32 v[6:7], v6
	v_mul_f64 v[6:7], v[6:7], s[6:7]
	v_and_or_b32 v4, v7, s10, v6
	v_cmp_ne_u32_e32 vcc, 0, v4
	v_lshrrev_b32_e32 v6, 8, v7
	v_bfe_u32 v9, v7, 20, 11
	v_cndmask_b32_e64 v4, 0, 1, vcc
	v_and_or_b32 v4, v6, s14, v4
	v_sub_u32_e32 v17, 0x3f1, v9
	v_or_b32_e32 v6, 0x1000, v4
	v_med3_i32 v17, v17, 0, 13
	v_lshrrev_b32_e32 v22, v17, v6
	v_lshlrev_b32_e32 v17, v17, v22
	v_cmp_ne_u32_e32 vcc, v17, v6
	v_add_u32_e32 v9, 0xfffffc10, v9
	v_lshl_or_b32 v17, v9, 12, v4
	v_cndmask_b32_e64 v6, 0, 1, vcc
	v_or_b32_e32 v6, v22, v6
	v_cmp_gt_i32_e32 vcc, 1, v9
	v_cvt_f32_f16_e32 v8, v8
	s_nop 0
	v_cndmask_b32_e32 v6, v17, v6, vcc
	v_and_b32_e32 v17, 7, v6
	v_cmp_lt_i32_e32 vcc, 5, v17
	v_cmp_eq_u32_e64 s[0:1], 3, v17
	v_lshrrev_b32_e32 v6, 2, v6
	s_or_b64 vcc, s[0:1], vcc
	v_addc_co_u32_e32 v6, vcc, 0, v6, vcc
	v_cmp_gt_i32_e32 vcc, 31, v9
	s_nop 1
	v_cndmask_b32_e32 v6, v12, v6, vcc
	v_cmp_ne_u32_e32 vcc, 0, v4
	s_nop 1
	v_cndmask_b32_e64 v4, 0, 1, vcc
	v_lshl_or_b32 v4, v4, 9, v12
	v_cmp_eq_u32_e32 vcc, s15, v9
	v_and_b32_sdwa v9, v7, s16 dst_sel:DWORD dst_unused:UNUSED_PAD src0_sel:WORD_1 src1_sel:DWORD
	s_nop 0
	v_cndmask_b32_e32 v4, v6, v4, vcc
	v_cvt_f64_f32_e32 v[6:7], v8
	v_mul_f64 v[6:7], v[6:7], s[6:7]
	v_and_or_b32 v6, v7, s10, v6
	v_cmp_ne_u32_e32 vcc, 0, v6
	v_lshrrev_b32_e32 v8, 8, v7
	v_bfe_u32 v14, v7, 20, 11
	v_cndmask_b32_e64 v6, 0, 1, vcc
	v_and_or_b32 v6, v8, s14, v6
	v_sub_u32_e32 v15, 0x3f1, v14
	v_or_b32_e32 v8, 0x1000, v6
	v_med3_i32 v15, v15, 0, 13
	v_lshrrev_b32_e32 v17, v15, v8
	v_lshlrev_b32_e32 v15, v15, v17
	v_cmp_ne_u32_e32 vcc, v15, v8
	v_add_u32_e32 v14, 0xfffffc10, v14
	v_lshl_or_b32 v15, v14, 12, v6
	v_cndmask_b32_e64 v8, 0, 1, vcc
	v_or_b32_e32 v8, v17, v8
	v_cmp_gt_i32_e32 vcc, 1, v14
	v_lshrrev_b32_e32 v7, 16, v7
	v_bitop3_b32 v4, v9, s2, v4 bitop3:0xc8
	v_cndmask_b32_e32 v8, v15, v8, vcc
	v_and_b32_e32 v15, 7, v8
	v_cmp_lt_i32_e32 vcc, 5, v15
	v_cmp_eq_u32_e64 s[0:1], 3, v15
	v_lshrrev_b32_e32 v8, 2, v8
	s_or_b64 vcc, s[0:1], vcc
	v_addc_co_u32_e32 v8, vcc, 0, v8, vcc
	v_cmp_gt_i32_e32 vcc, 31, v14
	s_nop 1
	v_cndmask_b32_e32 v8, v12, v8, vcc
	v_cmp_ne_u32_e32 vcc, 0, v6
	s_nop 1
	v_cndmask_b32_e64 v6, 0, 1, vcc
	v_lshl_or_b32 v6, v6, 9, v12
	v_cmp_eq_u32_e32 vcc, s15, v14
	v_lshrrev_b32_e32 v14, 16, v21
	s_nop 0
	v_cndmask_b32_e32 v6, v8, v6, vcc
	v_and_or_b32 v6, v7, s16, v6
	v_lshl_or_b32 v4, v6, 16, v4
	s_waitcnt vmcnt(1)
	v_mul_f16_sdwa v6, v14, v13 dst_sel:DWORD dst_unused:UNUSED_PAD src0_sel:DWORD src1_sel:WORD_1
	v_fma_f16 v6, v21, v13, v6
	v_cvt_f32_f16_e32 v8, v6
	v_mad_u64_u32 v[6:7], s[0:1], s8, v1, v[2:3]
	v_add_u32_e32 v7, s3, v7
	v_cvt_f64_f32_e32 v[2:3], v8
	v_mul_f64 v[2:3], v[2:3], s[6:7]
	v_and_or_b32 v2, v3, s10, v2
	v_bfe_u32 v15, v3, 20, 11
	v_cmp_ne_u32_e32 vcc, 0, v2
	v_sub_u32_e32 v8, 0x3f1, v15
	v_med3_i32 v17, v8, 0, 13
	v_cndmask_b32_e64 v2, 0, 1, vcc
	v_add_co_u32_e32 v8, vcc, s17, v10
	global_store_dword v[6:7], v4, off
	s_nop 0
	v_addc_co_u32_e32 v9, vcc, 0, v11, vcc
	global_load_dword v22, v[8:9], off offset:764
	v_lshrrev_b32_e32 v4, 8, v3
	v_and_or_b32 v2, v4, s14, v2
	v_or_b32_e32 v4, 0x1000, v2
	v_lshrrev_b32_e32 v23, v17, v4
	v_lshlrev_b32_e32 v17, v17, v23
	v_cmp_ne_u32_e32 vcc, v17, v4
	v_add_u32_e32 v15, 0xfffffc10, v15
	v_lshl_or_b32 v17, v15, 12, v2
	v_cndmask_b32_e64 v4, 0, 1, vcc
	v_or_b32_e32 v4, v23, v4
	v_cmp_gt_i32_e32 vcc, 1, v15
	s_nop 1
	v_cndmask_b32_e32 v4, v17, v4, vcc
	v_and_b32_e32 v17, 7, v4
	v_cmp_lt_i32_e32 vcc, 5, v17
	v_cmp_eq_u32_e64 s[0:1], 3, v17
	v_lshrrev_b32_e32 v4, 2, v4
	s_or_b64 vcc, s[0:1], vcc
	v_mul_f16_sdwa v17, v21, v13 dst_sel:DWORD dst_unused:UNUSED_PAD src0_sel:DWORD src1_sel:WORD_1
	v_addc_co_u32_e32 v4, vcc, 0, v4, vcc
	v_fma_f16 v13, v13, v14, -v17
	v_cmp_gt_i32_e32 vcc, 31, v15
	v_cvt_f32_f16_e32 v13, v13
	v_and_b32_sdwa v17, v3, s16 dst_sel:DWORD dst_unused:UNUSED_PAD src0_sel:WORD_1 src1_sel:DWORD
	v_cndmask_b32_e32 v4, v12, v4, vcc
	v_cmp_ne_u32_e32 vcc, 0, v2
	s_nop 1
	v_cndmask_b32_e64 v2, 0, 1, vcc
	v_lshl_or_b32 v2, v2, 9, v12
	v_cmp_eq_u32_e32 vcc, s15, v15
	s_nop 1
	v_cndmask_b32_e32 v4, v4, v2, vcc
	v_cvt_f64_f32_e32 v[2:3], v13
	v_mul_f64 v[2:3], v[2:3], s[6:7]
	v_and_or_b32 v2, v3, s10, v2
	v_cmp_ne_u32_e32 vcc, 0, v2
	v_lshrrev_b32_e32 v13, 8, v3
	v_bfe_u32 v14, v3, 20, 11
	v_cndmask_b32_e64 v2, 0, 1, vcc
	v_and_or_b32 v2, v13, s14, v2
	v_sub_u32_e32 v15, 0x3f1, v14
	v_or_b32_e32 v13, 0x1000, v2
	v_med3_i32 v15, v15, 0, 13
	v_lshrrev_b32_e32 v21, v15, v13
	v_lshlrev_b32_e32 v15, v15, v21
	v_cmp_ne_u32_e32 vcc, v15, v13
	v_add_u32_e32 v14, 0xfffffc10, v14
	v_lshl_or_b32 v15, v14, 12, v2
	v_cndmask_b32_e64 v13, 0, 1, vcc
	v_or_b32_e32 v13, v21, v13
	v_cmp_gt_i32_e32 vcc, 1, v14
	v_lshrrev_b32_e32 v3, 16, v3
	s_nop 0
	v_cndmask_b32_e32 v13, v15, v13, vcc
	v_and_b32_e32 v15, 7, v13
	v_cmp_lt_i32_e32 vcc, 5, v15
	v_cmp_eq_u32_e64 s[0:1], 3, v15
	v_lshrrev_b32_e32 v13, 2, v13
	s_or_b64 vcc, s[0:1], vcc
	v_addc_co_u32_e32 v13, vcc, 0, v13, vcc
	v_cmp_gt_i32_e32 vcc, 31, v14
	s_movk_i32 s0, 0x2000
	s_nop 0
	v_cndmask_b32_e32 v13, v12, v13, vcc
	v_cmp_ne_u32_e32 vcc, 0, v2
	s_nop 1
	v_cndmask_b32_e64 v2, 0, 1, vcc
	v_lshl_or_b32 v2, v2, 9, v12
	v_cmp_eq_u32_e32 vcc, s15, v14
	s_nop 1
	v_cndmask_b32_e32 v2, v13, v2, vcc
	v_add_u32_e32 v13, 0x12e0, v0
	v_and_or_b32 v2, v3, s16, v2
	v_bitop3_b32 v3, v17, s2, v4 bitop3:0xc8
	ds_read2_b32 v[14:15], v13 offset0:7 offset1:250
	v_lshl_or_b32 v13, v2, 16, v3
	v_add_co_u32_e32 v2, vcc, s0, v10
	v_mad_u64_u32 v[6:7], s[0:1], s8, v1, v[6:7]
	s_nop 0
	v_addc_co_u32_e32 v3, vcc, 0, v11, vcc
	global_load_dword v21, v[8:9], off offset:1736
	global_load_dword v23, v[8:9], off offset:2708
	;; [unrolled: 1-line block ×6, first 2 shown]
	s_waitcnt lgkmcnt(0)
	v_lshrrev_b32_e32 v17, 16, v14
	s_waitcnt vmcnt(6)
	v_mul_f16_sdwa v8, v17, v22 dst_sel:DWORD dst_unused:UNUSED_PAD src0_sel:DWORD src1_sel:WORD_1
	v_fma_f16 v8, v14, v22, v8
	v_cvt_f32_f16_e32 v8, v8
	v_add_u32_e32 v7, s3, v7
	global_store_dword v[6:7], v13, off
	v_mul_f16_sdwa v14, v14, v22 dst_sel:DWORD dst_unused:UNUSED_PAD src0_sel:DWORD src1_sel:WORD_1
	v_cvt_f64_f32_e32 v[8:9], v8
	v_mul_f64 v[8:9], v[8:9], s[6:7]
	v_and_or_b32 v8, v9, s10, v8
	v_cmp_ne_u32_e32 vcc, 0, v8
	v_lshrrev_b32_e32 v13, 8, v9
	v_bfe_u32 v27, v9, 20, 11
	v_cndmask_b32_e64 v8, 0, 1, vcc
	v_and_or_b32 v8, v13, s14, v8
	v_sub_u32_e32 v28, 0x3f1, v27
	v_or_b32_e32 v13, 0x1000, v8
	v_med3_i32 v28, v28, 0, 13
	v_lshrrev_b32_e32 v29, v28, v13
	v_lshlrev_b32_e32 v28, v28, v29
	v_cmp_ne_u32_e32 vcc, v28, v13
	v_add_u32_e32 v27, 0xfffffc10, v27
	v_lshl_or_b32 v28, v27, 12, v8
	v_cndmask_b32_e64 v13, 0, 1, vcc
	v_or_b32_e32 v13, v29, v13
	v_cmp_gt_i32_e32 vcc, 1, v27
	v_fma_f16 v14, v22, v17, -v14
	v_cvt_f32_f16_e32 v14, v14
	v_cndmask_b32_e32 v13, v28, v13, vcc
	v_and_b32_e32 v28, 7, v13
	v_cmp_lt_i32_e32 vcc, 5, v28
	v_cmp_eq_u32_e64 s[0:1], 3, v28
	v_lshrrev_b32_e32 v13, 2, v13
	s_or_b64 vcc, s[0:1], vcc
	v_addc_co_u32_e32 v13, vcc, 0, v13, vcc
	v_cmp_gt_i32_e32 vcc, 31, v27
	v_and_b32_sdwa v17, v9, s16 dst_sel:DWORD dst_unused:UNUSED_PAD src0_sel:WORD_1 src1_sel:DWORD
	s_nop 0
	v_cndmask_b32_e32 v13, v12, v13, vcc
	v_cmp_ne_u32_e32 vcc, 0, v8
	s_nop 1
	v_cndmask_b32_e64 v8, 0, 1, vcc
	v_lshl_or_b32 v8, v8, 9, v12
	v_cmp_eq_u32_e32 vcc, s15, v27
	s_nop 1
	v_cndmask_b32_e32 v13, v13, v8, vcc
	v_cvt_f64_f32_e32 v[8:9], v14
	v_mul_f64 v[8:9], v[8:9], s[6:7]
	v_and_or_b32 v8, v9, s10, v8
	v_cmp_ne_u32_e32 vcc, 0, v8
	v_lshrrev_b32_e32 v14, 8, v9
	v_bfe_u32 v22, v9, 20, 11
	v_cndmask_b32_e64 v8, 0, 1, vcc
	v_and_or_b32 v8, v14, s14, v8
	v_sub_u32_e32 v27, 0x3f1, v22
	v_or_b32_e32 v14, 0x1000, v8
	v_med3_i32 v27, v27, 0, 13
	v_lshrrev_b32_e32 v28, v27, v14
	v_lshlrev_b32_e32 v27, v27, v28
	v_cmp_ne_u32_e32 vcc, v27, v14
	v_add_u32_e32 v22, 0xfffffc10, v22
	v_lshl_or_b32 v27, v22, 12, v8
	v_cndmask_b32_e64 v14, 0, 1, vcc
	v_or_b32_e32 v14, v28, v14
	v_cmp_gt_i32_e32 vcc, 1, v22
	v_lshrrev_b32_e32 v9, 16, v9
	s_nop 0
	v_cndmask_b32_e32 v14, v27, v14, vcc
	v_and_b32_e32 v27, 7, v14
	v_cmp_lt_i32_e32 vcc, 5, v27
	v_cmp_eq_u32_e64 s[0:1], 3, v27
	v_lshrrev_b32_e32 v14, 2, v14
	s_or_b64 vcc, s[0:1], vcc
	v_addc_co_u32_e32 v14, vcc, 0, v14, vcc
	v_cmp_gt_i32_e32 vcc, 31, v22
	v_mad_u64_u32 v[6:7], s[0:1], s8, v1, v[6:7]
	s_nop 0
	v_cndmask_b32_e32 v14, v12, v14, vcc
	v_cmp_ne_u32_e32 vcc, 0, v8
	v_add_u32_e32 v7, s3, v7
	s_nop 0
	v_cndmask_b32_e64 v8, 0, 1, vcc
	v_lshl_or_b32 v8, v8, 9, v12
	v_cmp_eq_u32_e32 vcc, s15, v22
	s_nop 1
	v_cndmask_b32_e32 v8, v14, v8, vcc
	v_and_or_b32 v8, v9, s16, v8
	v_bitop3_b32 v9, v17, s2, v13 bitop3:0xc8
	v_lshrrev_b32_e32 v13, 16, v15
	v_lshl_or_b32 v8, v8, 16, v9
	s_waitcnt vmcnt(6)
	v_mul_f16_sdwa v9, v13, v21 dst_sel:DWORD dst_unused:UNUSED_PAD src0_sel:DWORD src1_sel:WORD_1
	v_fma_f16 v9, v15, v21, v9
	v_cvt_f32_f16_e32 v9, v9
	global_store_dword v[6:7], v8, off
	v_mul_f16_sdwa v15, v15, v21 dst_sel:DWORD dst_unused:UNUSED_PAD src0_sel:DWORD src1_sel:WORD_1
	v_fma_f16 v13, v21, v13, -v15
	v_cvt_f64_f32_e32 v[8:9], v9
	v_mul_f64 v[8:9], v[8:9], s[6:7]
	v_and_or_b32 v8, v9, s10, v8
	v_cmp_ne_u32_e32 vcc, 0, v8
	v_lshrrev_b32_e32 v14, 8, v9
	v_bfe_u32 v17, v9, 20, 11
	v_cndmask_b32_e64 v8, 0, 1, vcc
	v_and_or_b32 v8, v14, s14, v8
	v_sub_u32_e32 v22, 0x3f1, v17
	v_or_b32_e32 v14, 0x1000, v8
	v_med3_i32 v22, v22, 0, 13
	v_lshrrev_b32_e32 v27, v22, v14
	v_lshlrev_b32_e32 v22, v22, v27
	v_cmp_ne_u32_e32 vcc, v22, v14
	v_add_u32_e32 v17, 0xfffffc10, v17
	v_lshl_or_b32 v22, v17, 12, v8
	v_cndmask_b32_e64 v14, 0, 1, vcc
	v_or_b32_e32 v14, v27, v14
	v_cmp_gt_i32_e32 vcc, 1, v17
	v_cvt_f32_f16_e32 v13, v13
	v_and_b32_sdwa v15, v9, s16 dst_sel:DWORD dst_unused:UNUSED_PAD src0_sel:WORD_1 src1_sel:DWORD
	v_cndmask_b32_e32 v14, v22, v14, vcc
	v_and_b32_e32 v22, 7, v14
	v_cmp_lt_i32_e32 vcc, 5, v22
	v_cmp_eq_u32_e64 s[0:1], 3, v22
	v_lshrrev_b32_e32 v14, 2, v14
	s_or_b64 vcc, s[0:1], vcc
	v_addc_co_u32_e32 v14, vcc, 0, v14, vcc
	v_cmp_gt_i32_e32 vcc, 31, v17
	s_nop 1
	v_cndmask_b32_e32 v14, v12, v14, vcc
	v_cmp_ne_u32_e32 vcc, 0, v8
	s_nop 1
	v_cndmask_b32_e64 v8, 0, 1, vcc
	v_lshl_or_b32 v8, v8, 9, v12
	v_cmp_eq_u32_e32 vcc, s15, v17
	s_nop 1
	v_cndmask_b32_e32 v14, v14, v8, vcc
	v_cvt_f64_f32_e32 v[8:9], v13
	v_mul_f64 v[8:9], v[8:9], s[6:7]
	v_and_or_b32 v8, v9, s10, v8
	v_cmp_ne_u32_e32 vcc, 0, v8
	v_lshrrev_b32_e32 v13, 8, v9
	v_bfe_u32 v17, v9, 20, 11
	v_cndmask_b32_e64 v8, 0, 1, vcc
	v_and_or_b32 v8, v13, s14, v8
	v_sub_u32_e32 v21, 0x3f1, v17
	v_or_b32_e32 v13, 0x1000, v8
	v_med3_i32 v21, v21, 0, 13
	v_lshrrev_b32_e32 v22, v21, v13
	v_lshlrev_b32_e32 v21, v21, v22
	v_cmp_ne_u32_e32 vcc, v21, v13
	v_add_u32_e32 v17, 0xfffffc10, v17
	v_lshl_or_b32 v21, v17, 12, v8
	v_cndmask_b32_e64 v13, 0, 1, vcc
	v_or_b32_e32 v13, v22, v13
	v_cmp_gt_i32_e32 vcc, 1, v17
	v_lshrrev_b32_e32 v9, 16, v9
	s_nop 0
	v_cndmask_b32_e32 v13, v21, v13, vcc
	v_and_b32_e32 v21, 7, v13
	v_cmp_lt_i32_e32 vcc, 5, v21
	v_cmp_eq_u32_e64 s[0:1], 3, v21
	v_lshrrev_b32_e32 v13, 2, v13
	s_or_b64 vcc, s[0:1], vcc
	v_addc_co_u32_e32 v13, vcc, 0, v13, vcc
	v_cmp_gt_i32_e32 vcc, 31, v17
	v_mad_u64_u32 v[6:7], s[0:1], s8, v1, v[6:7]
	s_nop 0
	v_cndmask_b32_e32 v13, v12, v13, vcc
	v_cmp_ne_u32_e32 vcc, 0, v8
	v_add_u32_e32 v7, s3, v7
	s_nop 0
	v_cndmask_b32_e64 v8, 0, 1, vcc
	v_lshl_or_b32 v8, v8, 9, v12
	v_cmp_eq_u32_e32 vcc, s15, v17
	s_nop 1
	v_cndmask_b32_e32 v8, v13, v8, vcc
	v_and_or_b32 v8, v9, s16, v8
	v_bitop3_b32 v9, v15, s2, v14 bitop3:0xc8
	v_lshrrev_b32_e32 v13, 16, v16
	v_lshl_or_b32 v8, v8, 16, v9
	s_waitcnt vmcnt(6)
	v_mul_f16_sdwa v9, v13, v23 dst_sel:DWORD dst_unused:UNUSED_PAD src0_sel:DWORD src1_sel:WORD_1
	v_fma_f16 v9, v16, v23, v9
	v_cvt_f32_f16_e32 v9, v9
	global_store_dword v[6:7], v8, off
	v_mul_f16_sdwa v16, v16, v23 dst_sel:DWORD dst_unused:UNUSED_PAD src0_sel:DWORD src1_sel:WORD_1
	v_fma_f16 v13, v23, v13, -v16
	v_cvt_f64_f32_e32 v[8:9], v9
	v_mul_f64 v[8:9], v[8:9], s[6:7]
	v_and_or_b32 v8, v9, s10, v8
	v_cmp_ne_u32_e32 vcc, 0, v8
	v_lshrrev_b32_e32 v14, 8, v9
	v_bfe_u32 v15, v9, 20, 11
	v_cndmask_b32_e64 v8, 0, 1, vcc
	v_and_or_b32 v8, v14, s14, v8
	v_sub_u32_e32 v17, 0x3f1, v15
	v_or_b32_e32 v14, 0x1000, v8
	v_med3_i32 v17, v17, 0, 13
	v_lshrrev_b32_e32 v21, v17, v14
	v_lshlrev_b32_e32 v17, v17, v21
	v_cmp_ne_u32_e32 vcc, v17, v14
	v_add_u32_e32 v15, 0xfffffc10, v15
	v_lshl_or_b32 v17, v15, 12, v8
	v_cndmask_b32_e64 v14, 0, 1, vcc
	v_or_b32_e32 v14, v21, v14
	v_cmp_gt_i32_e32 vcc, 1, v15
	v_cvt_f32_f16_e32 v13, v13
	s_nop 0
	v_cndmask_b32_e32 v14, v17, v14, vcc
	v_and_b32_e32 v17, 7, v14
	v_cmp_lt_i32_e32 vcc, 5, v17
	v_cmp_eq_u32_e64 s[0:1], 3, v17
	v_lshrrev_b32_e32 v14, 2, v14
	s_or_b64 vcc, s[0:1], vcc
	v_addc_co_u32_e32 v14, vcc, 0, v14, vcc
	v_cmp_gt_i32_e32 vcc, 31, v15
	s_nop 1
	v_cndmask_b32_e32 v14, v12, v14, vcc
	v_cmp_ne_u32_e32 vcc, 0, v8
	s_nop 1
	v_cndmask_b32_e64 v8, 0, 1, vcc
	v_lshl_or_b32 v8, v8, 9, v12
	v_cmp_eq_u32_e32 vcc, s15, v15
	v_and_b32_sdwa v15, v9, s16 dst_sel:DWORD dst_unused:UNUSED_PAD src0_sel:WORD_1 src1_sel:DWORD
	s_nop 0
	v_cndmask_b32_e32 v14, v14, v8, vcc
	v_cvt_f64_f32_e32 v[8:9], v13
	v_mul_f64 v[8:9], v[8:9], s[6:7]
	v_and_or_b32 v8, v9, s10, v8
	v_cmp_ne_u32_e32 vcc, 0, v8
	v_lshrrev_b32_e32 v13, 8, v9
	v_bfe_u32 v16, v9, 20, 11
	v_cndmask_b32_e64 v8, 0, 1, vcc
	v_and_or_b32 v8, v13, s14, v8
	v_sub_u32_e32 v17, 0x3f1, v16
	v_or_b32_e32 v13, 0x1000, v8
	v_med3_i32 v17, v17, 0, 13
	v_lshrrev_b32_e32 v21, v17, v13
	v_lshlrev_b32_e32 v17, v17, v21
	v_cmp_ne_u32_e32 vcc, v17, v13
	v_add_u32_e32 v16, 0xfffffc10, v16
	v_lshl_or_b32 v17, v16, 12, v8
	v_cndmask_b32_e64 v13, 0, 1, vcc
	v_or_b32_e32 v13, v21, v13
	v_cmp_gt_i32_e32 vcc, 1, v16
	v_lshrrev_b32_e32 v9, 16, v9
	s_nop 0
	v_cndmask_b32_e32 v13, v17, v13, vcc
	v_and_b32_e32 v17, 7, v13
	v_cmp_lt_i32_e32 vcc, 5, v17
	v_cmp_eq_u32_e64 s[0:1], 3, v17
	v_lshrrev_b32_e32 v13, 2, v13
	s_or_b64 vcc, s[0:1], vcc
	v_addc_co_u32_e32 v13, vcc, 0, v13, vcc
	v_cmp_gt_i32_e32 vcc, 31, v16
	v_mad_u64_u32 v[6:7], s[0:1], s8, v1, v[6:7]
	s_nop 0
	v_cndmask_b32_e32 v13, v12, v13, vcc
	v_cmp_ne_u32_e32 vcc, 0, v8
	v_add_u32_e32 v7, s3, v7
	s_nop 0
	v_cndmask_b32_e64 v8, 0, 1, vcc
	v_lshl_or_b32 v8, v8, 9, v12
	v_cmp_eq_u32_e32 vcc, s15, v16
	s_nop 1
	v_cndmask_b32_e32 v8, v13, v8, vcc
	v_and_or_b32 v8, v9, s16, v8
	v_bitop3_b32 v9, v15, s2, v14 bitop3:0xc8
	v_lshrrev_b32_e32 v13, 16, v20
	v_lshl_or_b32 v8, v8, 16, v9
	s_waitcnt vmcnt(6)
	v_mul_f16_sdwa v9, v13, v24 dst_sel:DWORD dst_unused:UNUSED_PAD src0_sel:DWORD src1_sel:WORD_1
	v_fma_f16 v9, v20, v24, v9
	v_cvt_f32_f16_e32 v9, v9
	global_store_dword v[6:7], v8, off
	v_cvt_f64_f32_e32 v[8:9], v9
	v_mul_f64 v[8:9], v[8:9], s[6:7]
	v_and_or_b32 v8, v9, s10, v8
	v_cmp_ne_u32_e32 vcc, 0, v8
	v_lshrrev_b32_e32 v14, 8, v9
	v_bfe_u32 v15, v9, 20, 11
	v_cndmask_b32_e64 v8, 0, 1, vcc
	v_and_or_b32 v8, v14, s14, v8
	v_sub_u32_e32 v16, 0x3f1, v15
	v_or_b32_e32 v14, 0x1000, v8
	v_med3_i32 v16, v16, 0, 13
	v_lshrrev_b32_e32 v17, v16, v14
	v_lshlrev_b32_e32 v16, v16, v17
	v_cmp_ne_u32_e32 vcc, v16, v14
	v_add_u32_e32 v15, 0xfffffc10, v15
	v_lshl_or_b32 v16, v15, 12, v8
	v_cndmask_b32_e64 v14, 0, 1, vcc
	v_or_b32_e32 v14, v17, v14
	v_cmp_gt_i32_e32 vcc, 1, v15
	v_and_b32_sdwa v17, v9, s16 dst_sel:DWORD dst_unused:UNUSED_PAD src0_sel:WORD_1 src1_sel:DWORD
	s_nop 0
	v_cndmask_b32_e32 v14, v16, v14, vcc
	v_and_b32_e32 v16, 7, v14
	v_cmp_lt_i32_e32 vcc, 5, v16
	v_cmp_eq_u32_e64 s[0:1], 3, v16
	v_lshrrev_b32_e32 v14, 2, v14
	s_or_b64 vcc, s[0:1], vcc
	v_mul_f16_sdwa v16, v20, v24 dst_sel:DWORD dst_unused:UNUSED_PAD src0_sel:DWORD src1_sel:WORD_1
	v_addc_co_u32_e32 v14, vcc, 0, v14, vcc
	v_fma_f16 v13, v24, v13, -v16
	v_cmp_gt_i32_e32 vcc, 31, v15
	v_cvt_f32_f16_e32 v13, v13
	s_nop 0
	v_cndmask_b32_e32 v14, v12, v14, vcc
	v_cmp_ne_u32_e32 vcc, 0, v8
	s_nop 1
	v_cndmask_b32_e64 v8, 0, 1, vcc
	v_lshl_or_b32 v8, v8, 9, v12
	v_cmp_eq_u32_e32 vcc, s15, v15
	s_nop 1
	v_cndmask_b32_e32 v16, v14, v8, vcc
	v_cvt_f64_f32_e32 v[8:9], v13
	v_mul_f64 v[8:9], v[8:9], s[6:7]
	v_and_or_b32 v8, v9, s10, v8
	v_cmp_ne_u32_e32 vcc, 0, v8
	v_lshrrev_b32_e32 v13, 8, v9
	v_bfe_u32 v14, v9, 20, 11
	v_cndmask_b32_e64 v8, 0, 1, vcc
	v_and_or_b32 v8, v13, s14, v8
	v_sub_u32_e32 v15, 0x3f1, v14
	v_or_b32_e32 v13, 0x1000, v8
	v_med3_i32 v15, v15, 0, 13
	v_lshrrev_b32_e32 v20, v15, v13
	v_lshlrev_b32_e32 v15, v15, v20
	v_cmp_ne_u32_e32 vcc, v15, v13
	v_add_u32_e32 v14, 0xfffffc10, v14
	v_lshl_or_b32 v15, v14, 12, v8
	v_cndmask_b32_e64 v13, 0, 1, vcc
	v_or_b32_e32 v13, v20, v13
	v_cmp_gt_i32_e32 vcc, 1, v14
	v_lshrrev_b32_e32 v9, 16, v9
	s_nop 0
	v_cndmask_b32_e32 v13, v15, v13, vcc
	v_and_b32_e32 v15, 7, v13
	v_cmp_lt_i32_e32 vcc, 5, v15
	v_cmp_eq_u32_e64 s[0:1], 3, v15
	v_lshrrev_b32_e32 v13, 2, v13
	s_or_b64 vcc, s[0:1], vcc
	v_addc_co_u32_e32 v13, vcc, 0, v13, vcc
	v_cmp_gt_i32_e32 vcc, 31, v14
	v_mad_u64_u32 v[6:7], s[0:1], s8, v1, v[6:7]
	s_nop 0
	v_cndmask_b32_e32 v13, v12, v13, vcc
	v_cmp_ne_u32_e32 vcc, 0, v8
	v_add_u32_e32 v7, s3, v7
	s_nop 0
	v_cndmask_b32_e64 v8, 0, 1, vcc
	v_lshl_or_b32 v8, v8, 9, v12
	v_cmp_eq_u32_e32 vcc, s15, v14
	s_nop 1
	v_cndmask_b32_e32 v8, v13, v8, vcc
	v_add_u32_e32 v13, 0x2200, v0
	ds_read2_b32 v[14:15], v13 offset0:11 offset1:254
	v_and_or_b32 v8, v9, s16, v8
	v_bitop3_b32 v9, v17, s2, v16 bitop3:0xc8
	v_lshl_or_b32 v8, v8, 16, v9
	global_store_dword v[6:7], v8, off
	s_waitcnt lgkmcnt(0)
	v_lshrrev_b32_e32 v13, 16, v14
	s_waitcnt vmcnt(7)
	v_mul_f16_sdwa v9, v13, v25 dst_sel:DWORD dst_unused:UNUSED_PAD src0_sel:DWORD src1_sel:WORD_1
	v_fma_f16 v9, v14, v25, v9
	v_cvt_f32_f16_e32 v9, v9
	v_mul_f16_sdwa v14, v14, v25 dst_sel:DWORD dst_unused:UNUSED_PAD src0_sel:DWORD src1_sel:WORD_1
	v_fma_f16 v13, v25, v13, -v14
	v_cvt_f32_f16_e32 v13, v13
	v_cvt_f64_f32_e32 v[8:9], v9
	v_mul_f64 v[8:9], v[8:9], s[6:7]
	v_and_or_b32 v8, v9, s10, v8
	v_cmp_ne_u32_e32 vcc, 0, v8
	v_lshrrev_b32_e32 v16, 8, v9
	v_bfe_u32 v17, v9, 20, 11
	v_cndmask_b32_e64 v8, 0, 1, vcc
	v_and_or_b32 v8, v16, s14, v8
	v_sub_u32_e32 v20, 0x3f1, v17
	v_or_b32_e32 v16, 0x1000, v8
	v_med3_i32 v20, v20, 0, 13
	v_lshrrev_b32_e32 v21, v20, v16
	v_lshlrev_b32_e32 v20, v20, v21
	v_cmp_ne_u32_e32 vcc, v20, v16
	v_add_u32_e32 v17, 0xfffffc10, v17
	v_lshl_or_b32 v20, v17, 12, v8
	v_cndmask_b32_e64 v16, 0, 1, vcc
	v_or_b32_e32 v16, v21, v16
	v_cmp_gt_i32_e32 vcc, 1, v17
	v_add_u32_e32 v0, 0x3140, v0
	s_nop 0
	v_cndmask_b32_e32 v16, v20, v16, vcc
	v_and_b32_e32 v20, 7, v16
	v_cmp_lt_i32_e32 vcc, 5, v20
	v_cmp_eq_u32_e64 s[0:1], 3, v20
	v_lshrrev_b32_e32 v16, 2, v16
	s_or_b64 vcc, s[0:1], vcc
	v_addc_co_u32_e32 v16, vcc, 0, v16, vcc
	v_cmp_gt_i32_e32 vcc, 31, v17
	s_nop 1
	v_cndmask_b32_e32 v16, v12, v16, vcc
	v_cmp_ne_u32_e32 vcc, 0, v8
	s_nop 1
	v_cndmask_b32_e64 v8, 0, 1, vcc
	v_lshl_or_b32 v8, v8, 9, v12
	v_cmp_eq_u32_e32 vcc, s15, v17
	s_nop 1
	v_cndmask_b32_e32 v14, v16, v8, vcc
	v_and_b32_sdwa v16, v9, s16 dst_sel:DWORD dst_unused:UNUSED_PAD src0_sel:WORD_1 src1_sel:DWORD
	v_cvt_f64_f32_e32 v[8:9], v13
	v_mul_f64 v[8:9], v[8:9], s[6:7]
	v_and_or_b32 v8, v9, s10, v8
	v_cmp_ne_u32_e32 vcc, 0, v8
	v_lshrrev_b32_e32 v13, 8, v9
	v_bfe_u32 v17, v9, 20, 11
	v_cndmask_b32_e64 v8, 0, 1, vcc
	v_and_or_b32 v8, v13, s14, v8
	v_sub_u32_e32 v20, 0x3f1, v17
	v_or_b32_e32 v13, 0x1000, v8
	v_med3_i32 v20, v20, 0, 13
	v_lshrrev_b32_e32 v21, v20, v13
	v_lshlrev_b32_e32 v20, v20, v21
	v_cmp_ne_u32_e32 vcc, v20, v13
	v_add_u32_e32 v17, 0xfffffc10, v17
	v_lshl_or_b32 v20, v17, 12, v8
	v_cndmask_b32_e64 v13, 0, 1, vcc
	v_or_b32_e32 v13, v21, v13
	v_cmp_gt_i32_e32 vcc, 1, v17
	v_lshrrev_b32_e32 v9, 16, v9
	s_nop 0
	v_cndmask_b32_e32 v13, v20, v13, vcc
	v_and_b32_e32 v20, 7, v13
	v_cmp_lt_i32_e32 vcc, 5, v20
	v_cmp_eq_u32_e64 s[0:1], 3, v20
	v_lshrrev_b32_e32 v13, 2, v13
	s_or_b64 vcc, s[0:1], vcc
	v_addc_co_u32_e32 v13, vcc, 0, v13, vcc
	v_cmp_gt_i32_e32 vcc, 31, v17
	v_mad_u64_u32 v[6:7], s[0:1], s8, v1, v[6:7]
	s_nop 0
	v_cndmask_b32_e32 v13, v12, v13, vcc
	v_cmp_ne_u32_e32 vcc, 0, v8
	v_add_u32_e32 v7, s3, v7
	s_nop 0
	v_cndmask_b32_e64 v8, 0, 1, vcc
	v_lshl_or_b32 v8, v8, 9, v12
	v_cmp_eq_u32_e32 vcc, s15, v17
	s_nop 1
	v_cndmask_b32_e32 v8, v13, v8, vcc
	v_and_or_b32 v8, v9, s16, v8
	v_bitop3_b32 v9, v16, s2, v14 bitop3:0xc8
	v_lshrrev_b32_e32 v13, 16, v15
	v_lshl_or_b32 v8, v8, 16, v9
	s_waitcnt vmcnt(6)
	v_mul_f16_sdwa v9, v13, v26 dst_sel:DWORD dst_unused:UNUSED_PAD src0_sel:DWORD src1_sel:WORD_1
	v_fma_f16 v9, v15, v26, v9
	v_cvt_f32_f16_e32 v9, v9
	global_store_dword v[6:7], v8, off
	v_mul_f16_sdwa v15, v15, v26 dst_sel:DWORD dst_unused:UNUSED_PAD src0_sel:DWORD src1_sel:WORD_1
	v_fma_f16 v13, v26, v13, -v15
	v_cvt_f64_f32_e32 v[8:9], v9
	v_mul_f64 v[8:9], v[8:9], s[6:7]
	v_and_or_b32 v8, v9, s10, v8
	v_cmp_ne_u32_e32 vcc, 0, v8
	v_lshrrev_b32_e32 v14, 8, v9
	v_bfe_u32 v16, v9, 20, 11
	v_cndmask_b32_e64 v8, 0, 1, vcc
	v_and_or_b32 v8, v14, s14, v8
	v_sub_u32_e32 v17, 0x3f1, v16
	v_or_b32_e32 v14, 0x1000, v8
	v_med3_i32 v17, v17, 0, 13
	v_lshrrev_b32_e32 v20, v17, v14
	v_lshlrev_b32_e32 v17, v17, v20
	v_cmp_ne_u32_e32 vcc, v17, v14
	v_add_u32_e32 v16, 0xfffffc10, v16
	v_lshl_or_b32 v17, v16, 12, v8
	v_cndmask_b32_e64 v14, 0, 1, vcc
	v_or_b32_e32 v14, v20, v14
	v_cmp_gt_i32_e32 vcc, 1, v16
	v_cvt_f32_f16_e32 v13, v13
	v_and_b32_sdwa v15, v9, s16 dst_sel:DWORD dst_unused:UNUSED_PAD src0_sel:WORD_1 src1_sel:DWORD
	v_cndmask_b32_e32 v14, v17, v14, vcc
	v_and_b32_e32 v17, 7, v14
	v_cmp_lt_i32_e32 vcc, 5, v17
	v_cmp_eq_u32_e64 s[0:1], 3, v17
	v_lshrrev_b32_e32 v14, 2, v14
	s_or_b64 vcc, s[0:1], vcc
	v_addc_co_u32_e32 v14, vcc, 0, v14, vcc
	v_cmp_gt_i32_e32 vcc, 31, v16
	s_nop 1
	v_cndmask_b32_e32 v14, v12, v14, vcc
	v_cmp_ne_u32_e32 vcc, 0, v8
	s_nop 1
	v_cndmask_b32_e64 v8, 0, 1, vcc
	v_lshl_or_b32 v8, v8, 9, v12
	v_cmp_eq_u32_e32 vcc, s15, v16
	s_nop 1
	v_cndmask_b32_e32 v14, v14, v8, vcc
	v_cvt_f64_f32_e32 v[8:9], v13
	v_mul_f64 v[8:9], v[8:9], s[6:7]
	v_and_or_b32 v8, v9, s10, v8
	v_cmp_ne_u32_e32 vcc, 0, v8
	v_lshrrev_b32_e32 v13, 8, v9
	v_bfe_u32 v16, v9, 20, 11
	v_cndmask_b32_e64 v8, 0, 1, vcc
	v_and_or_b32 v8, v13, s14, v8
	v_sub_u32_e32 v17, 0x3f1, v16
	v_or_b32_e32 v13, 0x1000, v8
	v_med3_i32 v17, v17, 0, 13
	v_lshrrev_b32_e32 v20, v17, v13
	v_lshlrev_b32_e32 v17, v17, v20
	v_cmp_ne_u32_e32 vcc, v17, v13
	v_add_u32_e32 v16, 0xfffffc10, v16
	v_lshl_or_b32 v17, v16, 12, v8
	v_cndmask_b32_e64 v13, 0, 1, vcc
	v_or_b32_e32 v13, v20, v13
	v_cmp_gt_i32_e32 vcc, 1, v16
	v_lshrrev_b32_e32 v9, 16, v9
	s_nop 0
	v_cndmask_b32_e32 v13, v17, v13, vcc
	v_and_b32_e32 v17, 7, v13
	v_cmp_lt_i32_e32 vcc, 5, v17
	v_cmp_eq_u32_e64 s[0:1], 3, v17
	v_lshrrev_b32_e32 v13, 2, v13
	s_or_b64 vcc, s[0:1], vcc
	v_addc_co_u32_e32 v13, vcc, 0, v13, vcc
	v_cmp_gt_i32_e32 vcc, 31, v16
	v_mad_u64_u32 v[6:7], s[0:1], s8, v1, v[6:7]
	s_nop 0
	v_cndmask_b32_e32 v13, v12, v13, vcc
	v_cmp_ne_u32_e32 vcc, 0, v8
	v_add_u32_e32 v7, s3, v7
	s_nop 0
	v_cndmask_b32_e64 v8, 0, 1, vcc
	v_lshl_or_b32 v8, v8, 9, v12
	v_cmp_eq_u32_e32 vcc, s15, v16
	s_nop 1
	v_cndmask_b32_e32 v8, v13, v8, vcc
	v_and_or_b32 v8, v9, s16, v8
	v_bitop3_b32 v9, v15, s2, v14 bitop3:0xc8
	v_lshrrev_b32_e32 v13, 16, v18
	v_lshl_or_b32 v8, v8, 16, v9
	s_waitcnt vmcnt(6)
	v_mul_f16_sdwa v9, v13, v4 dst_sel:DWORD dst_unused:UNUSED_PAD src0_sel:DWORD src1_sel:WORD_1
	v_fma_f16 v9, v18, v4, v9
	v_cvt_f32_f16_e32 v9, v9
	global_store_dword v[6:7], v8, off
	v_cvt_f64_f32_e32 v[8:9], v9
	v_mul_f64 v[8:9], v[8:9], s[6:7]
	v_and_or_b32 v8, v9, s10, v8
	v_cmp_ne_u32_e32 vcc, 0, v8
	v_lshrrev_b32_e32 v14, 8, v9
	v_bfe_u32 v15, v9, 20, 11
	v_cndmask_b32_e64 v8, 0, 1, vcc
	v_and_or_b32 v8, v14, s14, v8
	v_sub_u32_e32 v16, 0x3f1, v15
	v_or_b32_e32 v14, 0x1000, v8
	v_med3_i32 v16, v16, 0, 13
	v_lshrrev_b32_e32 v17, v16, v14
	v_lshlrev_b32_e32 v16, v16, v17
	v_cmp_ne_u32_e32 vcc, v16, v14
	v_add_u32_e32 v15, 0xfffffc10, v15
	v_lshl_or_b32 v16, v15, 12, v8
	v_cndmask_b32_e64 v14, 0, 1, vcc
	v_or_b32_e32 v14, v17, v14
	v_cmp_gt_i32_e32 vcc, 1, v15
	s_nop 1
	v_cndmask_b32_e32 v14, v16, v14, vcc
	v_and_b32_e32 v16, 7, v14
	v_cmp_lt_i32_e32 vcc, 5, v16
	v_cmp_eq_u32_e64 s[0:1], 3, v16
	v_lshrrev_b32_e32 v14, 2, v14
	s_or_b64 vcc, s[0:1], vcc
	v_mul_f16_sdwa v16, v18, v4 dst_sel:DWORD dst_unused:UNUSED_PAD src0_sel:DWORD src1_sel:WORD_1
	v_addc_co_u32_e32 v14, vcc, 0, v14, vcc
	v_fma_f16 v4, v4, v13, -v16
	v_cmp_gt_i32_e32 vcc, 31, v15
	v_cvt_f32_f16_e32 v4, v4
	s_nop 0
	v_cndmask_b32_e32 v14, v12, v14, vcc
	v_cmp_ne_u32_e32 vcc, 0, v8
	s_nop 1
	v_cndmask_b32_e64 v8, 0, 1, vcc
	v_lshl_or_b32 v8, v8, 9, v12
	v_cmp_eq_u32_e32 vcc, s15, v15
	s_nop 1
	v_cndmask_b32_e32 v13, v14, v8, vcc
	v_and_b32_sdwa v14, v9, s16 dst_sel:DWORD dst_unused:UNUSED_PAD src0_sel:WORD_1 src1_sel:DWORD
	v_cvt_f64_f32_e32 v[8:9], v4
	v_mul_f64 v[8:9], v[8:9], s[6:7]
	v_and_or_b32 v4, v9, s10, v8
	v_cmp_ne_u32_e32 vcc, 0, v4
	v_lshrrev_b32_e32 v8, 8, v9
	v_bfe_u32 v15, v9, 20, 11
	v_cndmask_b32_e64 v4, 0, 1, vcc
	v_and_or_b32 v4, v8, s14, v4
	v_sub_u32_e32 v16, 0x3f1, v15
	v_or_b32_e32 v8, 0x1000, v4
	v_med3_i32 v16, v16, 0, 13
	v_lshrrev_b32_e32 v17, v16, v8
	v_lshlrev_b32_e32 v16, v16, v17
	v_cmp_ne_u32_e32 vcc, v16, v8
	v_add_u32_e32 v15, 0xfffffc10, v15
	v_lshl_or_b32 v16, v15, 12, v4
	v_cndmask_b32_e64 v8, 0, 1, vcc
	v_or_b32_e32 v8, v17, v8
	v_cmp_gt_i32_e32 vcc, 1, v15
	s_nop 1
	v_cndmask_b32_e32 v8, v16, v8, vcc
	v_and_b32_e32 v16, 7, v8
	v_cmp_lt_i32_e32 vcc, 5, v16
	v_cmp_eq_u32_e64 s[0:1], 3, v16
	v_lshrrev_b32_e32 v8, 2, v8
	s_or_b64 vcc, s[0:1], vcc
	v_addc_co_u32_e32 v8, vcc, 0, v8, vcc
	v_cmp_gt_i32_e32 vcc, 31, v15
	v_mad_u64_u32 v[6:7], s[0:1], s8, v1, v[6:7]
	s_nop 0
	v_cndmask_b32_e32 v8, v12, v8, vcc
	v_cmp_ne_u32_e32 vcc, 0, v4
	v_add_u32_e32 v7, s3, v7
	s_nop 0
	v_cndmask_b32_e64 v4, 0, 1, vcc
	v_lshl_or_b32 v4, v4, 9, v12
	v_cmp_eq_u32_e32 vcc, s15, v15
	s_nop 1
	v_cndmask_b32_e32 v4, v8, v4, vcc
	v_lshrrev_b32_e32 v8, 16, v9
	v_and_or_b32 v4, v8, s16, v4
	v_bitop3_b32 v8, v14, s2, v13 bitop3:0xc8
	v_lshl_or_b32 v4, v4, 16, v8
	global_store_dword v[6:7], v4, off
	global_load_dword v4, v[2:3], off offset:3472
	v_lshrrev_b32_e32 v8, 16, v5
	s_waitcnt vmcnt(0)
	v_mul_f16_sdwa v2, v8, v4 dst_sel:DWORD dst_unused:UNUSED_PAD src0_sel:DWORD src1_sel:WORD_1
	v_fma_f16 v2, v5, v4, v2
	v_cvt_f32_f16_e32 v2, v2
	v_mul_f16_sdwa v5, v5, v4 dst_sel:DWORD dst_unused:UNUSED_PAD src0_sel:DWORD src1_sel:WORD_1
	v_fma_f16 v4, v4, v8, -v5
	v_cvt_f32_f16_e32 v4, v4
	v_cvt_f64_f32_e32 v[2:3], v2
	v_mul_f64 v[2:3], v[2:3], s[6:7]
	v_and_or_b32 v2, v3, s10, v2
	v_cmp_ne_u32_e32 vcc, 0, v2
	v_lshrrev_b32_e32 v9, 8, v3
	v_bfe_u32 v13, v3, 20, 11
	v_cndmask_b32_e64 v2, 0, 1, vcc
	v_and_or_b32 v2, v9, s14, v2
	v_sub_u32_e32 v14, 0x3f1, v13
	v_or_b32_e32 v9, 0x1000, v2
	v_med3_i32 v14, v14, 0, 13
	v_lshrrev_b32_e32 v15, v14, v9
	v_lshlrev_b32_e32 v14, v14, v15
	v_cmp_ne_u32_e32 vcc, v14, v9
	v_add_u32_e32 v13, 0xfffffc10, v13
	v_lshl_or_b32 v14, v13, 12, v2
	v_cndmask_b32_e64 v9, 0, 1, vcc
	v_or_b32_e32 v9, v15, v9
	v_cmp_gt_i32_e32 vcc, 1, v13
	v_and_b32_sdwa v8, v3, s16 dst_sel:DWORD dst_unused:UNUSED_PAD src0_sel:WORD_1 src1_sel:DWORD
	s_nop 0
	v_cndmask_b32_e32 v9, v14, v9, vcc
	v_and_b32_e32 v14, 7, v9
	v_cmp_lt_i32_e32 vcc, 5, v14
	v_cmp_eq_u32_e64 s[0:1], 3, v14
	v_lshrrev_b32_e32 v9, 2, v9
	s_or_b64 vcc, s[0:1], vcc
	v_addc_co_u32_e32 v9, vcc, 0, v9, vcc
	v_cmp_gt_i32_e32 vcc, 31, v13
	s_nop 1
	v_cndmask_b32_e32 v9, v12, v9, vcc
	v_cmp_ne_u32_e32 vcc, 0, v2
	s_nop 1
	v_cndmask_b32_e64 v2, 0, 1, vcc
	v_lshl_or_b32 v2, v2, 9, v12
	v_cmp_eq_u32_e32 vcc, s15, v13
	s_nop 1
	v_cndmask_b32_e32 v5, v9, v2, vcc
	v_cvt_f64_f32_e32 v[2:3], v4
	v_mul_f64 v[2:3], v[2:3], s[6:7]
	v_and_or_b32 v2, v3, s10, v2
	v_cmp_ne_u32_e32 vcc, 0, v2
	v_lshrrev_b32_e32 v4, 8, v3
	v_bfe_u32 v9, v3, 20, 11
	v_cndmask_b32_e64 v2, 0, 1, vcc
	v_and_or_b32 v2, v4, s14, v2
	v_sub_u32_e32 v13, 0x3f1, v9
	v_or_b32_e32 v4, 0x1000, v2
	v_med3_i32 v13, v13, 0, 13
	v_lshrrev_b32_e32 v14, v13, v4
	v_lshlrev_b32_e32 v13, v13, v14
	v_cmp_ne_u32_e32 vcc, v13, v4
	v_add_u32_e32 v9, 0xfffffc10, v9
	v_lshl_or_b32 v13, v9, 12, v2
	v_cndmask_b32_e64 v4, 0, 1, vcc
	v_or_b32_e32 v4, v14, v4
	v_cmp_gt_i32_e32 vcc, 1, v9
	v_lshrrev_b32_e32 v3, 16, v3
	s_nop 0
	v_cndmask_b32_e32 v4, v13, v4, vcc
	v_and_b32_e32 v13, 7, v4
	v_cmp_lt_i32_e32 vcc, 5, v13
	v_cmp_eq_u32_e64 s[0:1], 3, v13
	v_lshrrev_b32_e32 v4, 2, v4
	s_or_b64 vcc, s[0:1], vcc
	v_addc_co_u32_e32 v4, vcc, 0, v4, vcc
	v_cmp_gt_i32_e32 vcc, 31, v9
	s_nop 1
	v_cndmask_b32_e32 v4, v12, v4, vcc
	v_cmp_ne_u32_e32 vcc, 0, v2
	s_nop 1
	v_cndmask_b32_e64 v2, 0, 1, vcc
	v_lshl_or_b32 v2, v2, 9, v12
	v_cmp_eq_u32_e32 vcc, s15, v9
	s_nop 1
	v_cndmask_b32_e32 v2, v4, v2, vcc
	v_and_or_b32 v2, v3, s16, v2
	v_bitop3_b32 v3, v8, s2, v5 bitop3:0xc8
	v_lshl_or_b32 v4, v2, 16, v3
	v_mad_u64_u32 v[2:3], s[0:1], s8, v1, v[6:7]
	v_add_u32_e32 v3, s3, v3
	s_movk_i32 s0, 0x3000
	global_store_dword v[2:3], v4, off
	v_add_co_u32_e32 v4, vcc, s0, v10
	ds_read2_b32 v[6:7], v0 offset0:7 offset1:250
	s_nop 0
	v_addc_co_u32_e32 v5, vcc, 0, v11, vcc
	global_load_dword v10, v[4:5], off offset:348
	s_waitcnt lgkmcnt(0)
	v_lshrrev_b32_e32 v0, 16, v6
	s_waitcnt vmcnt(0)
	v_mul_f16_sdwa v8, v0, v10 dst_sel:DWORD dst_unused:UNUSED_PAD src0_sel:DWORD src1_sel:WORD_1
	v_fma_f16 v8, v6, v10, v8
	v_cvt_f32_f16_e32 v8, v8
	v_mul_f16_sdwa v6, v6, v10 dst_sel:DWORD dst_unused:UNUSED_PAD src0_sel:DWORD src1_sel:WORD_1
	v_fma_f16 v0, v10, v0, -v6
	v_cvt_f32_f16_e32 v0, v0
	v_cvt_f64_f32_e32 v[8:9], v8
	v_mul_f64 v[8:9], v[8:9], s[6:7]
	v_and_or_b32 v8, v9, s10, v8
	v_cmp_ne_u32_e32 vcc, 0, v8
	v_lshrrev_b32_e32 v11, 8, v9
	v_bfe_u32 v13, v9, 20, 11
	v_cndmask_b32_e64 v8, 0, 1, vcc
	v_and_or_b32 v8, v11, s14, v8
	v_sub_u32_e32 v14, 0x3f1, v13
	v_or_b32_e32 v11, 0x1000, v8
	v_med3_i32 v14, v14, 0, 13
	v_lshrrev_b32_e32 v15, v14, v11
	v_lshlrev_b32_e32 v14, v14, v15
	v_cmp_ne_u32_e32 vcc, v14, v11
	v_add_u32_e32 v13, 0xfffffc10, v13
	v_lshl_or_b32 v14, v13, 12, v8
	v_cndmask_b32_e64 v11, 0, 1, vcc
	v_or_b32_e32 v11, v15, v11
	v_cmp_gt_i32_e32 vcc, 1, v13
	v_and_b32_sdwa v10, v9, s16 dst_sel:DWORD dst_unused:UNUSED_PAD src0_sel:WORD_1 src1_sel:DWORD
	s_nop 0
	v_cndmask_b32_e32 v11, v14, v11, vcc
	v_and_b32_e32 v14, 7, v11
	v_cmp_lt_i32_e32 vcc, 5, v14
	v_cmp_eq_u32_e64 s[0:1], 3, v14
	v_lshrrev_b32_e32 v11, 2, v11
	s_or_b64 vcc, s[0:1], vcc
	v_addc_co_u32_e32 v11, vcc, 0, v11, vcc
	v_cmp_gt_i32_e32 vcc, 31, v13
	s_nop 1
	v_cndmask_b32_e32 v11, v12, v11, vcc
	v_cmp_ne_u32_e32 vcc, 0, v8
	s_nop 1
	v_cndmask_b32_e64 v8, 0, 1, vcc
	v_lshl_or_b32 v8, v8, 9, v12
	v_cmp_eq_u32_e32 vcc, s15, v13
	s_nop 1
	v_cndmask_b32_e32 v6, v11, v8, vcc
	v_cvt_f64_f32_e32 v[8:9], v0
	v_mul_f64 v[8:9], v[8:9], s[6:7]
	v_and_or_b32 v0, v9, s10, v8
	v_cmp_ne_u32_e32 vcc, 0, v0
	v_lshrrev_b32_e32 v8, 8, v9
	v_bfe_u32 v11, v9, 20, 11
	v_cndmask_b32_e64 v0, 0, 1, vcc
	v_and_or_b32 v0, v8, s14, v0
	v_sub_u32_e32 v13, 0x3f1, v11
	v_or_b32_e32 v8, 0x1000, v0
	v_med3_i32 v13, v13, 0, 13
	v_lshrrev_b32_e32 v14, v13, v8
	v_lshlrev_b32_e32 v13, v13, v14
	v_cmp_ne_u32_e32 vcc, v13, v8
	v_add_u32_e32 v11, 0xfffffc10, v11
	v_lshl_or_b32 v13, v11, 12, v0
	v_cndmask_b32_e64 v8, 0, 1, vcc
	v_or_b32_e32 v8, v14, v8
	v_cmp_gt_i32_e32 vcc, 1, v11
	v_bitop3_b32 v6, v10, s2, v6 bitop3:0xc8
	s_nop 0
	v_cndmask_b32_e32 v8, v13, v8, vcc
	v_and_b32_e32 v13, 7, v8
	v_cmp_lt_i32_e32 vcc, 5, v13
	v_cmp_eq_u32_e64 s[0:1], 3, v13
	v_lshrrev_b32_e32 v8, 2, v8
	s_or_b64 vcc, s[0:1], vcc
	v_addc_co_u32_e32 v8, vcc, 0, v8, vcc
	v_cmp_gt_i32_e32 vcc, 31, v11
	v_mad_u64_u32 v[2:3], s[0:1], s8, v1, v[2:3]
	s_nop 0
	v_cndmask_b32_e32 v8, v12, v8, vcc
	v_cmp_ne_u32_e32 vcc, 0, v0
	v_add_u32_e32 v3, s3, v3
	s_nop 0
	v_cndmask_b32_e64 v0, 0, 1, vcc
	v_lshl_or_b32 v0, v0, 9, v12
	v_cmp_eq_u32_e32 vcc, s15, v11
	s_nop 1
	v_cndmask_b32_e32 v0, v8, v0, vcc
	v_lshrrev_b32_e32 v8, 16, v9
	v_and_or_b32 v0, v8, s16, v0
	v_lshl_or_b32 v0, v0, 16, v6
	global_store_dword v[2:3], v0, off
	global_load_dword v0, v[4:5], off offset:1320
	v_lshrrev_b32_e32 v6, 16, v7
	s_waitcnt vmcnt(0)
	v_mul_f16_sdwa v8, v6, v0 dst_sel:DWORD dst_unused:UNUSED_PAD src0_sel:DWORD src1_sel:WORD_1
	v_fma_f16 v8, v7, v0, v8
	v_cvt_f32_f16_e32 v8, v8
	v_mul_f16_sdwa v7, v7, v0 dst_sel:DWORD dst_unused:UNUSED_PAD src0_sel:DWORD src1_sel:WORD_1
	v_fma_f16 v0, v0, v6, -v7
	v_cvt_f32_f16_e32 v0, v0
	v_cvt_f64_f32_e32 v[8:9], v8
	v_mul_f64 v[8:9], v[8:9], s[6:7]
	v_and_or_b32 v8, v9, s10, v8
	v_cmp_ne_u32_e32 vcc, 0, v8
	v_lshrrev_b32_e32 v10, 8, v9
	v_bfe_u32 v11, v9, 20, 11
	v_cndmask_b32_e64 v8, 0, 1, vcc
	v_and_or_b32 v8, v10, s14, v8
	v_sub_u32_e32 v13, 0x3f1, v11
	v_or_b32_e32 v10, 0x1000, v8
	v_med3_i32 v13, v13, 0, 13
	v_lshrrev_b32_e32 v14, v13, v10
	v_lshlrev_b32_e32 v13, v13, v14
	v_cmp_ne_u32_e32 vcc, v13, v10
	v_add_u32_e32 v11, 0xfffffc10, v11
	v_lshl_or_b32 v13, v11, 12, v8
	v_cndmask_b32_e64 v10, 0, 1, vcc
	v_or_b32_e32 v10, v14, v10
	v_cmp_gt_i32_e32 vcc, 1, v11
	v_cvt_f64_f32_e32 v[6:7], v0
	v_mul_f64 v[6:7], v[6:7], s[6:7]
	v_cndmask_b32_e32 v10, v13, v10, vcc
	v_and_b32_e32 v13, 7, v10
	v_cmp_lt_i32_e32 vcc, 5, v13
	v_cmp_eq_u32_e64 s[0:1], 3, v13
	v_lshrrev_b32_e32 v10, 2, v10
	s_or_b64 vcc, s[0:1], vcc
	v_addc_co_u32_e32 v10, vcc, 0, v10, vcc
	v_cmp_gt_i32_e32 vcc, 31, v11
	v_and_or_b32 v0, v7, s10, v6
	v_lshrrev_b32_e32 v6, 8, v7
	v_cndmask_b32_e32 v10, v12, v10, vcc
	v_cmp_ne_u32_e32 vcc, 0, v8
	v_and_b32_sdwa v9, v9, s16 dst_sel:DWORD dst_unused:UNUSED_PAD src0_sel:WORD_1 src1_sel:DWORD
	s_nop 0
	v_cndmask_b32_e64 v8, 0, 1, vcc
	v_lshl_or_b32 v8, v8, 9, v12
	v_cmp_eq_u32_e32 vcc, s15, v11
	s_nop 1
	v_cndmask_b32_e32 v8, v10, v8, vcc
	v_cmp_ne_u32_e32 vcc, 0, v0
	v_bfe_u32 v10, v7, 20, 11
	v_sub_u32_e32 v11, 0x3f1, v10
	v_cndmask_b32_e64 v0, 0, 1, vcc
	v_and_or_b32 v0, v6, s14, v0
	v_or_b32_e32 v6, 0x1000, v0
	v_med3_i32 v11, v11, 0, 13
	v_lshrrev_b32_e32 v13, v11, v6
	v_lshlrev_b32_e32 v11, v11, v13
	v_cmp_ne_u32_e32 vcc, v11, v6
	v_add_u32_e32 v10, 0xfffffc10, v10
	v_lshl_or_b32 v11, v10, 12, v0
	v_cndmask_b32_e64 v6, 0, 1, vcc
	v_or_b32_e32 v6, v13, v6
	v_cmp_gt_i32_e32 vcc, 1, v10
	s_nop 1
	v_cndmask_b32_e32 v6, v11, v6, vcc
	v_and_b32_e32 v11, 7, v6
	v_cmp_lt_i32_e32 vcc, 5, v11
	v_cmp_eq_u32_e64 s[0:1], 3, v11
	v_lshrrev_b32_e32 v6, 2, v6
	s_or_b64 vcc, s[0:1], vcc
	v_addc_co_u32_e32 v6, vcc, 0, v6, vcc
	v_cmp_gt_i32_e32 vcc, 31, v10
	v_mad_u64_u32 v[2:3], s[0:1], s8, v1, v[2:3]
	s_nop 0
	v_cndmask_b32_e32 v6, v12, v6, vcc
	v_cmp_ne_u32_e32 vcc, 0, v0
	v_add_u32_e32 v3, s3, v3
	s_nop 0
	v_cndmask_b32_e64 v0, 0, 1, vcc
	v_lshl_or_b32 v0, v0, 9, v12
	v_cmp_eq_u32_e32 vcc, s15, v10
	s_nop 1
	v_cndmask_b32_e32 v0, v6, v0, vcc
	v_lshrrev_b32_e32 v6, 16, v7
	v_and_or_b32 v0, v6, s16, v0
	v_bitop3_b32 v6, v9, s2, v8 bitop3:0xc8
	v_lshl_or_b32 v0, v0, 16, v6
	global_store_dword v[2:3], v0, off
	global_load_dword v0, v[4:5], off offset:2292
	v_lshrrev_b32_e32 v6, 16, v19
	s_waitcnt vmcnt(0)
	v_mul_f16_sdwa v4, v6, v0 dst_sel:DWORD dst_unused:UNUSED_PAD src0_sel:DWORD src1_sel:WORD_1
	v_fma_f16 v4, v19, v0, v4
	v_cvt_f32_f16_e32 v4, v4
	v_cvt_f64_f32_e32 v[4:5], v4
	v_mul_f64 v[4:5], v[4:5], s[6:7]
	v_and_or_b32 v4, v5, s10, v4
	v_cmp_ne_u32_e32 vcc, 0, v4
	v_lshrrev_b32_e32 v7, 8, v5
	v_bfe_u32 v8, v5, 20, 11
	v_cndmask_b32_e64 v4, 0, 1, vcc
	v_and_or_b32 v4, v7, s14, v4
	v_sub_u32_e32 v9, 0x3f1, v8
	v_or_b32_e32 v7, 0x1000, v4
	v_med3_i32 v9, v9, 0, 13
	v_lshrrev_b32_e32 v10, v9, v7
	v_lshlrev_b32_e32 v9, v9, v10
	v_cmp_ne_u32_e32 vcc, v9, v7
	v_add_u32_e32 v8, 0xfffffc10, v8
	v_lshl_or_b32 v9, v8, 12, v4
	v_cndmask_b32_e64 v7, 0, 1, vcc
	v_or_b32_e32 v7, v10, v7
	v_cmp_gt_i32_e32 vcc, 1, v8
	s_nop 1
	v_cndmask_b32_e32 v7, v9, v7, vcc
	v_and_b32_e32 v9, 7, v7
	v_cmp_lt_i32_e32 vcc, 5, v9
	v_cmp_eq_u32_e64 s[0:1], 3, v9
	v_lshrrev_b32_e32 v7, 2, v7
	s_or_b64 vcc, s[0:1], vcc
	v_mul_f16_sdwa v9, v19, v0 dst_sel:DWORD dst_unused:UNUSED_PAD src0_sel:DWORD src1_sel:WORD_1
	v_addc_co_u32_e32 v7, vcc, 0, v7, vcc
	v_fma_f16 v0, v0, v6, -v9
	v_cmp_gt_i32_e32 vcc, 31, v8
	v_cvt_f32_f16_e32 v0, v0
	s_nop 0
	v_cndmask_b32_e32 v7, v12, v7, vcc
	v_cmp_ne_u32_e32 vcc, 0, v4
	s_nop 1
	v_cndmask_b32_e64 v4, 0, 1, vcc
	v_lshl_or_b32 v4, v4, 9, v12
	v_cmp_eq_u32_e32 vcc, s15, v8
	s_nop 1
	v_cndmask_b32_e32 v6, v7, v4, vcc
	v_and_b32_sdwa v7, v5, s16 dst_sel:DWORD dst_unused:UNUSED_PAD src0_sel:WORD_1 src1_sel:DWORD
	v_cvt_f64_f32_e32 v[4:5], v0
	v_mul_f64 v[4:5], v[4:5], s[6:7]
	v_and_or_b32 v0, v5, s10, v4
	v_cmp_ne_u32_e32 vcc, 0, v0
	v_lshrrev_b32_e32 v4, 8, v5
	v_bfe_u32 v8, v5, 20, 11
	v_cndmask_b32_e64 v0, 0, 1, vcc
	v_and_or_b32 v0, v4, s14, v0
	v_sub_u32_e32 v9, 0x3f1, v8
	v_or_b32_e32 v4, 0x1000, v0
	v_med3_i32 v9, v9, 0, 13
	v_lshrrev_b32_e32 v10, v9, v4
	v_lshlrev_b32_e32 v9, v9, v10
	v_cmp_ne_u32_e32 vcc, v9, v4
	v_add_u32_e32 v8, 0xfffffc10, v8
	v_lshl_or_b32 v9, v8, 12, v0
	v_cndmask_b32_e64 v4, 0, 1, vcc
	v_or_b32_e32 v4, v10, v4
	v_cmp_gt_i32_e32 vcc, 1, v8
	s_nop 1
	v_cndmask_b32_e32 v4, v9, v4, vcc
	v_and_b32_e32 v9, 7, v4
	v_cmp_lt_i32_e32 vcc, 5, v9
	v_cmp_eq_u32_e64 s[0:1], 3, v9
	v_lshrrev_b32_e32 v4, 2, v4
	s_or_b64 vcc, s[0:1], vcc
	v_addc_co_u32_e32 v4, vcc, 0, v4, vcc
	v_cmp_gt_i32_e32 vcc, 31, v8
	s_nop 1
	v_cndmask_b32_e32 v4, v12, v4, vcc
	v_cmp_ne_u32_e32 vcc, 0, v0
	s_nop 1
	v_cndmask_b32_e64 v0, 0, 1, vcc
	v_lshl_or_b32 v0, v0, 9, v12
	v_cmp_eq_u32_e32 vcc, s15, v8
	s_nop 1
	v_cndmask_b32_e32 v0, v4, v0, vcc
	v_lshrrev_b32_e32 v4, 16, v5
	v_and_or_b32 v0, v4, s16, v0
	v_bitop3_b32 v4, v7, s2, v6 bitop3:0xc8
	v_lshl_or_b32 v4, v0, 16, v4
	v_mad_u64_u32 v[0:1], s[0:1], s8, v1, v[2:3]
	v_add_u32_e32 v1, s3, v1
	global_store_dword v[0:1], v4, off
.LBB0_15:
	s_endpgm
	.section	.rodata,"a",@progbits
	.p2align	6, 0x0
	.amdhsa_kernel bluestein_single_fwd_len3888_dim1_half_op_CI_CI
		.amdhsa_group_segment_fixed_size 15552
		.amdhsa_private_segment_fixed_size 0
		.amdhsa_kernarg_size 104
		.amdhsa_user_sgpr_count 2
		.amdhsa_user_sgpr_dispatch_ptr 0
		.amdhsa_user_sgpr_queue_ptr 0
		.amdhsa_user_sgpr_kernarg_segment_ptr 1
		.amdhsa_user_sgpr_dispatch_id 0
		.amdhsa_user_sgpr_kernarg_preload_length 0
		.amdhsa_user_sgpr_kernarg_preload_offset 0
		.amdhsa_user_sgpr_private_segment_size 0
		.amdhsa_uses_dynamic_stack 0
		.amdhsa_enable_private_segment 0
		.amdhsa_system_sgpr_workgroup_id_x 1
		.amdhsa_system_sgpr_workgroup_id_y 0
		.amdhsa_system_sgpr_workgroup_id_z 0
		.amdhsa_system_sgpr_workgroup_info 0
		.amdhsa_system_vgpr_workitem_id 0
		.amdhsa_next_free_vgpr 118
		.amdhsa_next_free_sgpr 19
		.amdhsa_accum_offset 120
		.amdhsa_reserve_vcc 1
		.amdhsa_float_round_mode_32 0
		.amdhsa_float_round_mode_16_64 0
		.amdhsa_float_denorm_mode_32 3
		.amdhsa_float_denorm_mode_16_64 3
		.amdhsa_dx10_clamp 1
		.amdhsa_ieee_mode 1
		.amdhsa_fp16_overflow 0
		.amdhsa_tg_split 0
		.amdhsa_exception_fp_ieee_invalid_op 0
		.amdhsa_exception_fp_denorm_src 0
		.amdhsa_exception_fp_ieee_div_zero 0
		.amdhsa_exception_fp_ieee_overflow 0
		.amdhsa_exception_fp_ieee_underflow 0
		.amdhsa_exception_fp_ieee_inexact 0
		.amdhsa_exception_int_div_zero 0
	.end_amdhsa_kernel
	.text
.Lfunc_end0:
	.size	bluestein_single_fwd_len3888_dim1_half_op_CI_CI, .Lfunc_end0-bluestein_single_fwd_len3888_dim1_half_op_CI_CI
                                        ; -- End function
	.section	.AMDGPU.csdata,"",@progbits
; Kernel info:
; codeLenInByte = 24608
; NumSgprs: 25
; NumVgprs: 118
; NumAgprs: 0
; TotalNumVgprs: 118
; ScratchSize: 0
; MemoryBound: 0
; FloatMode: 240
; IeeeMode: 1
; LDSByteSize: 15552 bytes/workgroup (compile time only)
; SGPRBlocks: 3
; VGPRBlocks: 14
; NumSGPRsForWavesPerEU: 25
; NumVGPRsForWavesPerEU: 118
; AccumOffset: 120
; Occupancy: 4
; WaveLimiterHint : 1
; COMPUTE_PGM_RSRC2:SCRATCH_EN: 0
; COMPUTE_PGM_RSRC2:USER_SGPR: 2
; COMPUTE_PGM_RSRC2:TRAP_HANDLER: 0
; COMPUTE_PGM_RSRC2:TGID_X_EN: 1
; COMPUTE_PGM_RSRC2:TGID_Y_EN: 0
; COMPUTE_PGM_RSRC2:TGID_Z_EN: 0
; COMPUTE_PGM_RSRC2:TIDIG_COMP_CNT: 0
; COMPUTE_PGM_RSRC3_GFX90A:ACCUM_OFFSET: 29
; COMPUTE_PGM_RSRC3_GFX90A:TG_SPLIT: 0
	.text
	.p2alignl 6, 3212836864
	.fill 256, 4, 3212836864
	.type	__hip_cuid_438d87f5d297f1bc,@object ; @__hip_cuid_438d87f5d297f1bc
	.section	.bss,"aw",@nobits
	.globl	__hip_cuid_438d87f5d297f1bc
__hip_cuid_438d87f5d297f1bc:
	.byte	0                               ; 0x0
	.size	__hip_cuid_438d87f5d297f1bc, 1

	.ident	"AMD clang version 19.0.0git (https://github.com/RadeonOpenCompute/llvm-project roc-6.4.0 25133 c7fe45cf4b819c5991fe208aaa96edf142730f1d)"
	.section	".note.GNU-stack","",@progbits
	.addrsig
	.addrsig_sym __hip_cuid_438d87f5d297f1bc
	.amdgpu_metadata
---
amdhsa.kernels:
  - .agpr_count:     0
    .args:
      - .actual_access:  read_only
        .address_space:  global
        .offset:         0
        .size:           8
        .value_kind:     global_buffer
      - .actual_access:  read_only
        .address_space:  global
        .offset:         8
        .size:           8
        .value_kind:     global_buffer
      - .actual_access:  read_only
        .address_space:  global
        .offset:         16
        .size:           8
        .value_kind:     global_buffer
      - .actual_access:  read_only
        .address_space:  global
        .offset:         24
        .size:           8
        .value_kind:     global_buffer
      - .actual_access:  read_only
        .address_space:  global
        .offset:         32
        .size:           8
        .value_kind:     global_buffer
      - .offset:         40
        .size:           8
        .value_kind:     by_value
      - .address_space:  global
        .offset:         48
        .size:           8
        .value_kind:     global_buffer
      - .address_space:  global
        .offset:         56
        .size:           8
        .value_kind:     global_buffer
      - .address_space:  global
        .offset:         64
        .size:           8
        .value_kind:     global_buffer
      - .address_space:  global
        .offset:         72
        .size:           8
        .value_kind:     global_buffer
      - .offset:         80
        .size:           4
        .value_kind:     by_value
      - .address_space:  global
        .offset:         88
        .size:           8
        .value_kind:     global_buffer
      - .address_space:  global
        .offset:         96
        .size:           8
        .value_kind:     global_buffer
    .group_segment_fixed_size: 15552
    .kernarg_segment_align: 8
    .kernarg_segment_size: 104
    .language:       OpenCL C
    .language_version:
      - 2
      - 0
    .max_flat_workgroup_size: 324
    .name:           bluestein_single_fwd_len3888_dim1_half_op_CI_CI
    .private_segment_fixed_size: 0
    .sgpr_count:     25
    .sgpr_spill_count: 0
    .symbol:         bluestein_single_fwd_len3888_dim1_half_op_CI_CI.kd
    .uniform_work_group_size: 1
    .uses_dynamic_stack: false
    .vgpr_count:     118
    .vgpr_spill_count: 0
    .wavefront_size: 64
amdhsa.target:   amdgcn-amd-amdhsa--gfx950
amdhsa.version:
  - 1
  - 2
...

	.end_amdgpu_metadata
